;; amdgpu-corpus repo=UoB-HPC/miniBUDE kind=compiled arch=gfx1250 opt=O3
	.amdgcn_target "amdgcn-amd-amdhsa--gfx1250"
	.amdhsa_code_object_version 6
	.section	.text._ZL11fasten_mainILm1EEviiPK4AtomS2_PKfS4_S4_S4_S4_S4_PfPK8FFParamsi,"axG",@progbits,_ZL11fasten_mainILm1EEviiPK4AtomS2_PKfS4_S4_S4_S4_S4_PfPK8FFParamsi,comdat
	.globl	_ZL11fasten_mainILm1EEviiPK4AtomS2_PKfS4_S4_S4_S4_S4_PfPK8FFParamsi ; -- Begin function _ZL11fasten_mainILm1EEviiPK4AtomS2_PKfS4_S4_S4_S4_S4_PfPK8FFParamsi
	.p2align	8
	.type	_ZL11fasten_mainILm1EEviiPK4AtomS2_PKfS4_S4_S4_S4_S4_PfPK8FFParamsi,@function
_ZL11fasten_mainILm1EEviiPK4AtomS2_PKfS4_S4_S4_S4_S4_PfPK8FFParamsi: ; @_ZL11fasten_mainILm1EEviiPK4AtomS2_PKfS4_S4_S4_S4_S4_PfPK8FFParamsi
; %bb.0:
	s_clause 0x1
	s_load_b32 s2, s[0:1], 0x6c
	s_load_b32 s4, s[0:1], 0x58
	s_bfe_u32 s3, ttmp6, 0x4000c
	s_and_b32 s5, ttmp6, 15
	s_add_co_i32 s3, s3, 1
	s_getreg_b32 s6, hwreg(HW_REG_IB_STS2, 6, 4)
	s_mul_i32 s3, ttmp9, s3
	s_load_b512 s[8:23], s[0:1], 0x8
	s_add_co_i32 s5, s5, s3
	s_mov_b32 s7, 0xb94c1982
	v_mov_b32_e32 v7, 0
	s_delay_alu instid0(VALU_DEP_1) | instskip(SKIP_4) | instid1(SALU_CYCLE_1)
	v_dual_mov_b32 v15, v7 :: v_dual_mov_b32 v17, v7
	s_wait_kmcnt 0x0
	s_and_b32 s2, s2, 0xffff
	s_cmp_eq_u32 s6, 0
	s_cselect_b32 s3, ttmp9, s5
	v_mad_u32 v18, s3, s2, v0
	s_add_co_i32 s3, s4, -1
	s_delay_alu instid0(VALU_DEP_1)
	v_cmp_gt_i32_e64 s2, s4, v18
	s_mov_b64 s[4:5], 0xfe5163ab
	v_cndmask_b32_e64 v0, s3, v18, s2
	s_clause 0x5
	global_load_b32 v19, v0, s[12:13] scale_offset
	global_load_b32 v20, v0, s[14:15] scale_offset
	;; [unrolled: 1-line block ×6, first 2 shown]
	s_mov_b32 s3, 0x7fffff
	s_wait_xcnt 0x4
	s_clause 0x1
	s_load_b128 s[12:15], s[0:1], 0x48
	s_load_b64 s[16:17], s[0:1], 0x0
	s_mov_b32 s19, 0x37d75334
	s_mov_b32 s18, 0
	s_wait_kmcnt 0x0
	s_max_i32 s17, s17, 1
	s_max_i32 s16, s16, 1
	s_wait_loadcnt 0x5
	v_and_b32_e32 v24, 0x7fffffff, v19
	s_wait_loadcnt 0x4
	v_and_b32_e32 v23, 0x7fffffff, v20
	v_mul_f32_e64 v25, 0x3f22f983, |v20|
	v_cmp_gt_f32_e64 s6, 0x48000000, |v19|
	v_and_or_b32 v6, v24, s3, 0x800000
	s_delay_alu instid0(VALU_DEP_3) | instskip(NEXT) | instid1(VALU_DEP_2)
	v_rndne_f32_e32 v25, v25
	v_mul_u64_e32 v[10:11], s[4:5], v[6:7]
	v_mov_b32_e32 v1, v7
	s_delay_alu instid0(VALU_DEP_3) | instskip(SKIP_1) | instid1(VALU_DEP_4)
	v_fma_f32 v43, 0xbfc90fda, v25, |v20|
	v_cvt_i32_f32_e32 v44, v25
	v_mov_b32_e32 v0, v11
	s_delay_alu instid0(VALU_DEP_1) | instskip(NEXT) | instid1(VALU_DEP_1)
	v_mad_nc_u64_u32 v[26:27], 0x3c439041, v6, v[0:1]
	v_dual_mov_b32 v0, v27 :: v_dual_mov_b32 v27, v7
	s_delay_alu instid0(VALU_DEP_1) | instskip(NEXT) | instid1(VALU_DEP_1)
	v_mad_nc_u64_u32 v[28:29], 0xdb629599, v6, v[0:1]
	v_dual_mov_b32 v0, v29 :: v_dual_mov_b32 v29, v7
	;; [unrolled: 3-line block ×5, first 2 shown]
	s_delay_alu instid0(VALU_DEP_1) | instskip(SKIP_1) | instid1(VALU_DEP_1)
	v_mad_nc_u64_u32 v[36:37], 0xa2f9836e, v6, v[0:1]
	v_and_or_b32 v6, v23, s3, 0x800000
	v_mul_u64_e32 v[2:3], s[4:5], v[6:7]
	s_delay_alu instid0(VALU_DEP_1) | instskip(NEXT) | instid1(VALU_DEP_1)
	v_dual_mov_b32 v0, v3 :: v_dual_lshrrev_b32 v3, 23, v24
	v_mad_nc_u64_u32 v[8:9], 0x3c439041, v6, v[0:1]
	s_delay_alu instid0(VALU_DEP_2) | instskip(NEXT) | instid1(VALU_DEP_1)
	v_add_nc_u32_e32 v3, 0xffffff88, v3
	v_cmp_lt_u32_e32 vcc_lo, 63, v3
	s_delay_alu instid0(VALU_DEP_3) | instskip(SKIP_4) | instid1(VALU_DEP_4)
	v_mov_b32_e32 v0, v9
	v_cndmask_b32_e64 v9, 0, 0xffffffc0, vcc_lo
	v_cndmask_b32_e32 v36, v36, v32, vcc_lo
	v_dual_cndmask_b32 v32, v32, v28 :: v_dual_cndmask_b32 v39, v34, v30
	v_cndmask_b32_e32 v34, v37, v34, vcc_lo
	v_add_nc_u32_e32 v9, v9, v3
	v_mad_nc_u64_u32 v[12:13], 0xdb629599, v6, v[0:1]
	v_dual_cndmask_b32 v30, v30, v26 :: v_dual_mov_b32 v3, v7
	v_cndmask_b32_e32 v28, v28, v10, vcc_lo
	s_delay_alu instid0(VALU_DEP_4) | instskip(NEXT) | instid1(VALU_DEP_1)
	v_cmp_lt_u32_e64 s0, 31, v9
	v_cndmask_b32_e64 v11, 0, 0xffffffe0, s0
	v_dual_cndmask_b32 v34, v34, v36, s0 :: v_dual_mov_b32 v0, v13
	v_mul_f32_e64 v13, 0x3f22f983, |v19|
	s_delay_alu instid0(VALU_DEP_3)
	v_dual_cndmask_b32 v28, v30, v28, s0 :: v_dual_add_nc_u32 v11, v11, v9
	s_wait_loadcnt 0x3
	v_and_b32_e32 v9, 0x7fffffff, v22
	v_mad_nc_u64_u32 v[0:1], 0xf534ddc0, v6, v[0:1]
	v_rndne_f32_e32 v13, v13
	v_cmp_lt_u32_e64 s1, 31, v11
	s_delay_alu instid0(VALU_DEP_2) | instskip(SKIP_1) | instid1(VALU_DEP_3)
	v_fma_f32 v41, 0xbfc90fda, v13, |v19|
	v_cvt_i32_f32_e32 v42, v13
	v_cndmask_b32_e64 v38, 0, 0xffffffe0, s1
	s_delay_alu instid0(VALU_DEP_1) | instskip(SKIP_1) | instid1(VALU_DEP_2)
	v_dual_mov_b32 v14, v1 :: v_dual_add_nc_u32 v37, v38, v11
	v_dual_cndmask_b32 v11, v36, v39, s0 :: v_dual_cndmask_b32 v36, v39, v32, s0
	v_mad_nc_u64_u32 v[14:15], 0xfc2757d1, v6, v[14:15]
	v_mov_b32_e32 v1, v7
	s_delay_alu instid0(VALU_DEP_4) | instskip(NEXT) | instid1(VALU_DEP_4)
	v_cmp_eq_u32_e32 vcc_lo, 0, v37
	v_dual_cndmask_b32 v34, v34, v11, s1 :: v_dual_cndmask_b32 v38, v11, v36, s1
	s_delay_alu instid0(VALU_DEP_4) | instskip(SKIP_1) | instid1(VALU_DEP_2)
	v_mov_b32_e32 v16, v15
	v_mul_f32_e64 v15, 0x3f22f983, |v22|
	v_mad_nc_u64_u32 v[16:17], 0x4e441529, v6, v[16:17]
	v_cndmask_b32_e64 v32, v32, v30, s0
	s_delay_alu instid0(VALU_DEP_3) | instskip(NEXT) | instid1(VALU_DEP_1)
	v_rndne_f32_e32 v15, v15
	v_fma_f32 v45, 0xbfc90fda, v15, |v22|
	v_cvt_i32_f32_e32 v46, v15
	v_dual_mov_b32 v26, v17 :: v_dual_sub_nc_u32 v17, 32, v37
	s_delay_alu instid0(VALU_DEP_1) | instskip(SKIP_1) | instid1(VALU_DEP_3)
	v_mad_nc_u64_u32 v[26:27], 0xa2f9836e, v6, v[26:27]
	v_and_or_b32 v6, v9, s3, 0x800000
	v_alignbit_b32 v39, v34, v38, v17
	v_cndmask_b32_e64 v36, v36, v32, s1
	s_delay_alu instid0(VALU_DEP_3) | instskip(NEXT) | instid1(VALU_DEP_3)
	v_mul_u64_e32 v[10:11], s[4:5], v[6:7]
	v_cndmask_b32_e32 v37, v39, v34, vcc_lo
	s_delay_alu instid0(VALU_DEP_3) | instskip(SKIP_1) | instid1(VALU_DEP_2)
	v_alignbit_b32 v40, v38, v36, v17
	v_dual_lshrrev_b32 v34, 23, v23 :: v_dual_lshrrev_b32 v39, 23, v9
	v_cndmask_b32_e32 v30, v40, v38, vcc_lo
	s_delay_alu instid0(VALU_DEP_4) | instskip(SKIP_1) | instid1(VALU_DEP_3)
	v_bfe_u32 v38, v37, 29, 1
	v_cndmask_b32_e64 v28, v32, v28, s1
	v_alignbit_b32 v32, v37, v30, 30
	s_delay_alu instid0(VALU_DEP_3) | instskip(NEXT) | instid1(VALU_DEP_3)
	v_sub_nc_u32_e32 v40, 0, v38
	v_alignbit_b32 v17, v36, v28, v17
	v_add_nc_u32_e32 v34, 0xffffff88, v34
	s_delay_alu instid0(VALU_DEP_3) | instskip(NEXT) | instid1(VALU_DEP_3)
	v_xor_b32_e32 v32, v32, v40
	v_cndmask_b32_e32 v17, v17, v36, vcc_lo
	s_delay_alu instid0(VALU_DEP_3) | instskip(NEXT) | instid1(VALU_DEP_2)
	v_cmp_lt_u32_e32 vcc_lo, 63, v34
	v_alignbit_b32 v30, v30, v17, 30
	v_alignbit_b32 v17, v17, v28, 30
	v_cndmask_b32_e64 v47, 0, 0xffffffc0, vcc_lo
	v_cndmask_b32_e32 v2, v12, v2, vcc_lo
	v_cndmask_b32_e32 v8, v0, v8, vcc_lo
	v_xor_b32_e32 v30, v30, v40
	v_cndmask_b32_e32 v12, v14, v12, vcc_lo
	v_dual_cndmask_b32 v0, v16, v0, vcc_lo :: v_dual_mov_b32 v28, v11
	v_clz_i32_u32_e32 v36, v32
	v_dual_lshrrev_b32 v17, 29, v37 :: v_dual_bitop2_b32 v11, v17, v40 bitop3:0x14
	s_delay_alu instid0(VALU_DEP_3) | instskip(NEXT) | instid1(VALU_DEP_3)
	v_mad_nc_u64_u32 v[28:29], 0x3c439041, v6, v[28:29]
	v_min_u32_e32 v36, 32, v36
	v_fmac_f32_e32 v41, 0xb3a22168, v13
	v_add_nc_u32_e32 v39, 0xffffff88, v39
	s_delay_alu instid0(VALU_DEP_3) | instskip(NEXT) | instid1(VALU_DEP_3)
	v_dual_lshlrev_b32 v17, 31, v17 :: v_dual_sub_nc_u32 v48, 31, v36
	v_fmac_f32_e32 v41, 0xa7c234c4, v13
	v_add_nc_u32_e32 v13, v47, v34
	s_delay_alu instid0(VALU_DEP_3) | instskip(SKIP_3) | instid1(VALU_DEP_3)
	v_alignbit_b32 v32, v32, v30, v48
	v_alignbit_b32 v11, v30, v11, v48
	v_mov_b32_e32 v30, v29
	v_cmp_lt_u32_e64 s0, 63, v39
	v_alignbit_b32 v34, v32, v11, 9
	s_delay_alu instid0(VALU_DEP_3) | instskip(SKIP_1) | instid1(VALU_DEP_4)
	v_mad_nc_u64_u32 v[30:31], 0xdb629599, v6, v[30:31]
	v_fmac_f32_e32 v43, 0xb3a22168, v25
	v_cndmask_b32_e64 v40, 0, 0xffffffc0, s0
	v_lshlrev_b32_e32 v29, 23, v36
	s_delay_alu instid0(VALU_DEP_3) | instskip(SKIP_4) | instid1(VALU_DEP_4)
	v_fmac_f32_e32 v43, 0xa7c234c4, v25
	v_or_b32_e32 v25, 0.5, v17
	v_cmp_lt_u32_e64 s1, 31, v13
	v_add_nc_u32_e32 v39, v40, v39
	v_or_b32_e32 v17, 0x33000000, v17
	v_dual_cndmask_b32 v14, v26, v14 :: v_dual_sub_nc_u32 v25, v25, v29
	v_lshrrev_b32_e32 v29, 9, v32
	v_cndmask_b32_e64 v32, 0, 0xffffffe0, s1
	v_cmp_lt_u32_e64 s3, 31, v39
	s_delay_alu instid0(VALU_DEP_2) | instskip(SKIP_1) | instid1(VALU_DEP_3)
	v_dual_cndmask_b32 v10, v30, v10, s0 :: v_dual_add_nc_u32 v13, v32, v13
	v_mov_b32_e32 v32, v31
	v_cndmask_b32_e64 v40, 0, 0xffffffe0, s3
	v_or_b32_e32 v25, v29, v25
	s_delay_alu instid0(VALU_DEP_3) | instskip(SKIP_1) | instid1(VALU_DEP_1)
	v_mad_nc_u64_u32 v[32:33], 0xf534ddc0, v6, v[32:33]
	v_fmac_f32_e32 v45, 0xb3a22168, v15
	v_fmac_f32_e32 v45, 0xa7c234c4, v15
	v_clz_i32_u32_e32 v15, v34
	s_delay_alu instid0(VALU_DEP_1) | instskip(NEXT) | instid1(VALU_DEP_1)
	v_min_u32_e32 v15, 32, v15
	v_not_b32_e32 v29, v15
	v_add_lshl_u32 v15, v15, v36, 23
	s_delay_alu instid0(VALU_DEP_2) | instskip(NEXT) | instid1(VALU_DEP_2)
	v_alignbit_b32 v11, v34, v11, v29
	v_sub_nc_u32_e32 v15, v17, v15
	v_cmp_lt_u32_e64 s4, 31, v13
	v_dual_mov_b32 v34, v33 :: v_dual_add_nc_u32 v29, v40, v39
	s_delay_alu instid0(VALU_DEP_4) | instskip(NEXT) | instid1(VALU_DEP_3)
	v_lshrrev_b32_e32 v11, 9, v11
	v_cndmask_b32_e64 v17, 0, 0xffffffe0, s4
	s_delay_alu instid0(VALU_DEP_3) | instskip(NEXT) | instid1(VALU_DEP_4)
	v_cmp_lt_u32_e64 s5, 31, v29
	v_mad_nc_u64_u32 v[34:35], 0xfc2757d1, v6, v[34:35]
	s_delay_alu instid0(VALU_DEP_4) | instskip(NEXT) | instid1(VALU_DEP_4)
	v_or_b32_e32 v11, v15, v11
	v_dual_cndmask_b32 v16, v27, v16 :: v_dual_add_nc_u32 v13, v17, v13
	v_mul_f32_e32 v31, 0x3fc90fda, v25
	v_cndmask_b32_e64 v39, 0, 0xffffffe0, s5
	s_delay_alu instid0(VALU_DEP_3) | instskip(NEXT) | instid1(VALU_DEP_3)
	v_cmp_eq_u32_e32 vcc_lo, 0, v13
	v_fma_f32 v36, 0x3fc90fda, v25, -v31
	s_delay_alu instid0(VALU_DEP_3) | instskip(SKIP_1) | instid1(VALU_DEP_3)
	v_dual_add_nc_u32 v15, v39, v29 :: v_dual_cndmask_b32 v29, v8, v2, s1
	v_dual_mov_b32 v2, v35 :: v_dual_cndmask_b32 v8, v12, v8, s1
	v_fmac_f32_e32 v36, 0x33a22168, v25
	v_cndmask_b32_e64 v12, v0, v12, s1
	s_delay_alu instid0(VALU_DEP_3) | instskip(NEXT) | instid1(VALU_DEP_4)
	v_mad_nc_u64_u32 v[2:3], 0x4e441529, v6, v[2:3]
	v_cndmask_b32_e64 v29, v8, v29, s4
	s_delay_alu instid0(VALU_DEP_4) | instskip(NEXT) | instid1(VALU_DEP_1)
	v_dual_fmac_f32 v36, 0x3fc90fda, v11 :: v_dual_lshrrev_b32 v17, 30, v37
	v_dual_sub_nc_u32 v11, 32, v13 :: v_dual_add_f32 v25, v31, v36
	s_delay_alu instid0(VALU_DEP_2) | instskip(NEXT) | instid1(VALU_DEP_2)
	v_dual_add_nc_u32 v17, v38, v17 :: v_dual_sub_nc_u32 v31, 32, v15
	v_cndmask_b32_e64 v25, v25, v41, s6
	s_delay_alu instid0(VALU_DEP_2) | instskip(NEXT) | instid1(VALU_DEP_2)
	v_cndmask_b32_e64 v17, v17, v42, s6
	v_mul_f32_e32 v33, v25, v25
	s_delay_alu instid0(VALU_DEP_2) | instskip(NEXT) | instid1(VALU_DEP_2)
	v_dual_lshlrev_b32 v17, 30, v17 :: v_dual_bitop2_b32 v35, 1, v17 bitop3:0x40
	v_fmaak_f32 v36, s7, v33, 0x3c0881c4
	s_delay_alu instid0(VALU_DEP_1) | instskip(SKIP_2) | instid1(VALU_DEP_3)
	v_fmaak_f32 v27, v33, v36, 0xbe2aaa9d
	v_dual_cndmask_b32 v36, v14, v0, s1 :: v_dual_mov_b32 v0, v3
	v_cndmask_b32_e64 v3, v16, v14, s1
	v_dual_cndmask_b32 v8, v12, v8, s4 :: v_dual_mul_f32 v16, v33, v27
	v_cndmask_b32_e64 v27, v34, v30, s0
	s_delay_alu instid0(VALU_DEP_4) | instskip(NEXT) | instid1(VALU_DEP_4)
	v_mad_nc_u64_u32 v[0:1], 0xa2f9836e, v6, v[0:1]
	v_cndmask_b32_e64 v3, v3, v36, s4
	v_cndmask_b32_e64 v6, v36, v12, s4
	v_fmac_f32_e32 v25, v25, v16
	v_and_b32_e32 v12, 0x80000000, v17
	v_cndmask_b32_e64 v0, v0, v34, s0
	v_cndmask_b32_e64 v1, v1, v2, s0
	v_alignbit_b32 v16, v3, v6, v11
	s_delay_alu instid0(VALU_DEP_1) | instskip(SKIP_1) | instid1(VALU_DEP_2)
	v_dual_cndmask_b32 v36, v2, v32, s0 :: v_dual_cndmask_b32 v2, v16, v3, vcc_lo
	v_fmaak_f32 v26, s19, v33, 0xbab64f3b
	v_bfe_u32 v16, v2, 29, 1
	s_delay_alu instid0(VALU_DEP_2)
	v_fmaak_f32 v14, v33, v26, 0x3d2aabf7
	v_alignbit_b32 v26, v8, v29, v11
	v_alignbit_b32 v11, v6, v8, v11
	v_cndmask_b32_e64 v3, v32, v28, s0
	v_cndmask_b32_e64 v13, v0, v36, s3
	v_dual_cndmask_b32 v0, v1, v0, s3 :: v_dual_cndmask_b32 v1, v36, v27, s3
	s_delay_alu instid0(VALU_DEP_4) | instskip(NEXT) | instid1(VALU_DEP_4)
	v_cndmask_b32_e32 v6, v11, v6, vcc_lo
	v_dual_cndmask_b32 v11, v27, v3, s3 :: v_dual_cndmask_b32 v8, v26, v8, vcc_lo
	s_delay_alu instid0(VALU_DEP_3) | instskip(NEXT) | instid1(VALU_DEP_4)
	v_cndmask_b32_e64 v0, v0, v13, s5
	v_dual_cndmask_b32 v13, v13, v1, s5 :: v_dual_sub_nc_u32 v32, 0, v16
	s_delay_alu instid0(VALU_DEP_3) | instskip(SKIP_2) | instid1(VALU_DEP_4)
	v_cndmask_b32_e64 v1, v1, v11, s5
	v_cmp_eq_u32_e32 vcc_lo, 0, v15
	v_alignbit_b32 v26, v2, v6, 30
	v_alignbit_b32 v28, v0, v13, v31
	v_cndmask_b32_e64 v3, v3, v10, s3
	v_alignbit_b32 v30, v13, v1, v31
	v_alignbit_b32 v6, v6, v8, 30
	v_xor_b32_e32 v15, v26, v32
	s_delay_alu instid0(VALU_DEP_4) | instskip(NEXT) | instid1(VALU_DEP_4)
	v_dual_cndmask_b32 v0, v28, v0, vcc_lo :: v_dual_cndmask_b32 v3, v11, v3, s5
	v_cndmask_b32_e32 v10, v30, v13, vcc_lo
	v_alignbit_b32 v8, v8, v29, 30
	s_delay_alu instid0(VALU_DEP_4) | instskip(NEXT) | instid1(VALU_DEP_4)
	v_clz_i32_u32_e32 v26, v15
	v_bfe_u32 v13, v0, 29, 1
	v_alignbit_b32 v29, v1, v3, v31
	v_lshrrev_b32_e32 v27, 29, v2
	v_cmp_class_f32_e64 s0, v19, 0x1f8
	v_min_u32_e32 v26, 32, v26
	v_sub_nc_u32_e32 v28, 0, v13
	v_alignbit_b32 v11, v0, v10, 30
	v_xor_b32_e32 v6, v6, v32
	s_delay_alu instid0(VALU_DEP_4) | instskip(NEXT) | instid1(VALU_DEP_3)
	v_dual_lshlrev_b32 v32, 23, v26 :: v_dual_bitop2_b32 v8, v8, v32 bitop3:0x14
	v_dual_sub_nc_u32 v30, 31, v26 :: v_dual_bitop2_b32 v11, v11, v28 bitop3:0x14
	v_dual_cndmask_b32 v1, v29, v1, vcc_lo :: v_dual_lshlrev_b32 v27, 31, v27
	v_cmp_eq_u32_e32 vcc_lo, 0, v35
	s_delay_alu instid0(VALU_DEP_3) | instskip(NEXT) | instid1(VALU_DEP_4)
	v_alignbit_b32 v15, v15, v6, v30
	v_clz_i32_u32_e32 v29, v11
	v_alignbit_b32 v6, v6, v8, v30
	v_alignbit_b32 v8, v10, v1, 30
	;; [unrolled: 1-line block ×3, first 2 shown]
	s_add_nc_u64 s[4:5], s[8:9], 8
	v_min_u32_e32 v10, 32, v29
	v_or_b32_e32 v31, 0.5, v27
	v_xor_b32_e32 v8, v8, v28
	v_xor_b32_e32 v1, v1, v28
	v_alignbit_b32 v29, v15, v6, 9
	v_sub_nc_u32_e32 v30, 31, v10
	v_dual_fmaak_f32 v14, v33, v14, 0xbf000004 :: v_dual_sub_nc_u32 v3, v31, v32
	v_dual_lshrrev_b32 v15, 9, v15 :: v_dual_lshrrev_b32 v28, 29, v0
	s_delay_alu instid0(VALU_DEP_3) | instskip(SKIP_2) | instid1(VALU_DEP_4)
	v_alignbit_b32 v11, v11, v8, v30
	v_alignbit_b32 v1, v8, v1, v30
	v_clz_i32_u32_e32 v31, v29
	v_dual_lshlrev_b32 v8, 31, v28 :: v_dual_bitop2_b32 v3, v15, v3 bitop3:0x54
	v_fma_f32 v14, v33, v14, 1.0
	s_delay_alu instid0(VALU_DEP_4) | instskip(NEXT) | instid1(VALU_DEP_4)
	v_alignbit_b32 v28, v11, v1, 9
	v_min_u32_e32 v15, 32, v31
	v_or_b32_e32 v27, 0x33000000, v27
	v_dual_lshlrev_b32 v31, 23, v10 :: v_dual_bitop2_b32 v30, 0.5, v8 bitop3:0x54
	s_delay_alu instid0(VALU_DEP_4) | instskip(NEXT) | instid1(VALU_DEP_4)
	v_clz_i32_u32_e32 v33, v28
	v_not_b32_e32 v34, v15
	v_add_lshl_u32 v15, v15, v26, 23
	v_or_b32_e32 v8, 0x33000000, v8
	v_lshrrev_b32_e32 v2, 30, v2
	v_min_u32_e32 v26, 32, v33
	v_alignbit_b32 v6, v29, v6, v34
	v_dual_sub_nc_u32 v30, v30, v31 :: v_dual_lshrrev_b32 v0, 30, v0
	s_delay_alu instid0(VALU_DEP_3) | instskip(SKIP_2) | instid1(VALU_DEP_4)
	v_add_lshl_u32 v10, v26, v10, 23
	v_sub_nc_u32_e32 v15, v27, v15
	v_not_b32_e32 v27, v26
	v_dual_lshrrev_b32 v6, 9, v6 :: v_dual_add_nc_u32 v0, v13, v0
	s_delay_alu instid0(VALU_DEP_4) | instskip(NEXT) | instid1(VALU_DEP_3)
	v_dual_sub_nc_u32 v8, v8, v10 :: v_dual_lshrrev_b32 v11, 9, v11
	v_alignbit_b32 v1, v28, v1, v27
	v_mul_f32_e32 v32, 0x3fc90fda, v3
	v_cndmask_b32_e32 v10, v14, v25, vcc_lo
	s_delay_alu instid0(VALU_DEP_3) | instskip(NEXT) | instid1(VALU_DEP_3)
	v_lshrrev_b32_e32 v1, 9, v1
	v_fma_f32 v29, 0x3fc90fda, v3, -v32
	s_delay_alu instid0(VALU_DEP_3) | instskip(NEXT) | instid1(VALU_DEP_3)
	v_xor_b32_e32 v10, v19, v10
	v_or_b32_e32 v1, v8, v1
	s_delay_alu instid0(VALU_DEP_3) | instskip(SKIP_2) | instid1(VALU_DEP_1)
	v_fmac_f32_e32 v29, 0x33a22168, v3
	v_or_b32_e32 v3, v15, v6
	v_or_b32_e32 v11, v11, v30
	v_mul_f32_e32 v30, 0x3fc90fda, v11
	s_delay_alu instid0(VALU_DEP_1) | instskip(NEXT) | instid1(VALU_DEP_1)
	v_fma_f32 v6, 0x3fc90fda, v11, -v30
	v_fmac_f32_e32 v6, 0x33a22168, v11
	v_fmac_f32_e32 v29, 0x3fc90fda, v3
	v_cndmask_b32_e64 v3, -v25, v14, vcc_lo
	v_cmp_gt_f32_e64 vcc_lo, 0x48000000, |v20|
	s_delay_alu instid0(VALU_DEP_4) | instskip(NEXT) | instid1(VALU_DEP_4)
	v_fmac_f32_e32 v6, 0x3fc90fda, v1
	v_add_f32_e32 v8, v32, v29
	v_add_nc_u32_e32 v1, v16, v2
	v_bitop3_b32 v3, v17, v3, 0x80000000 bitop3:0x6c
	s_delay_alu instid0(VALU_DEP_3) | instskip(NEXT) | instid1(VALU_DEP_3)
	v_dual_add_f32 v6, v30, v6 :: v_dual_cndmask_b32 v2, v8, v43, vcc_lo
	v_cndmask_b32_e32 v1, v1, v44, vcc_lo
	v_cmp_gt_f32_e64 vcc_lo, 0x48000000, |v22|
	v_xor3_b32 v8, v10, v24, v12
	s_delay_alu instid0(VALU_DEP_4) | instskip(SKIP_1) | instid1(VALU_DEP_3)
	v_mul_f32_e32 v10, v2, v2
	v_cndmask_b32_e32 v6, v6, v45, vcc_lo
	v_cndmask_b32_e64 v14, 0x7fc00000, v8, s0
	v_dual_lshlrev_b32 v8, 30, v1 :: v_dual_bitop2_b32 v1, 1, v1 bitop3:0x40
	s_delay_alu instid0(VALU_DEP_4) | instskip(NEXT) | instid1(VALU_DEP_4)
	v_fmaak_f32 v15, s19, v10, 0xbab64f3b
	v_mul_f32_e32 v11, v6, v6
	v_fmaak_f32 v12, s7, v10, 0x3c0881c4
	v_cndmask_b32_e32 v0, v0, v46, vcc_lo
	v_cmp_eq_u32_e32 vcc_lo, 0, v1
	v_fmaak_f32 v15, v10, v15, 0x3d2aabf7
	v_fmaak_f32 v17, s7, v11, 0x3c0881c4
	;; [unrolled: 1-line block ×3, first 2 shown]
	v_and_b32_e32 v16, 0x80000000, v8
	s_delay_alu instid0(VALU_DEP_4) | instskip(NEXT) | instid1(VALU_DEP_4)
	v_fmaak_f32 v15, v10, v15, 0xbf000004
	v_fmaak_f32 v13, v11, v17, 0xbe2aaa9d
	s_delay_alu instid0(VALU_DEP_4) | instskip(NEXT) | instid1(VALU_DEP_2)
	v_dual_fmaak_f32 v19, s19, v11, 0xbab64f3b :: v_dual_mul_f32 v12, v10, v12
	v_mul_f32_e32 v13, v11, v13
	s_delay_alu instid0(VALU_DEP_2) | instskip(SKIP_3) | instid1(VALU_DEP_3)
	v_dual_fmaak_f32 v17, v11, v19, 0x3d2aabf7 :: v_dual_fmac_f32 v2, v2, v12
	v_dual_lshlrev_b32 v0, 30, v0 :: v_dual_bitop2_b32 v12, 1, v0 bitop3:0x40
	v_fma_f32 v10, v10, v15, 1.0
	v_mov_b32_e32 v19, 0
	v_cmp_eq_u32_e64 s1, 0, v12
	s_delay_alu instid0(VALU_DEP_3) | instskip(SKIP_3) | instid1(VALU_DEP_4)
	v_cndmask_b32_e32 v1, v10, v2, vcc_lo
	v_cndmask_b32_e64 v2, -v2, v10, vcc_lo
	v_cmp_class_f32_e64 vcc_lo, v20, 0x1f8
	v_and_b32_e32 v10, 0x80000000, v0
	v_xor_b32_e32 v1, v20, v1
	s_delay_alu instid0(VALU_DEP_4) | instskip(NEXT) | instid1(VALU_DEP_2)
	v_bitop3_b32 v2, v8, v2, 0x80000000 bitop3:0x6c
	v_xor3_b32 v1, v1, v23, v16
	s_delay_alu instid0(VALU_DEP_2) | instskip(SKIP_2) | instid1(VALU_DEP_2)
	v_cndmask_b32_e32 v2, 0x7fc00000, v2, vcc_lo
	v_fmaak_f32 v17, v11, v17, 0xbf000004
	v_fmac_f32_e32 v6, v6, v13
	v_fma_f32 v11, v11, v17, 1.0
	s_delay_alu instid0(VALU_DEP_1) | instskip(SKIP_1) | instid1(VALU_DEP_2)
	v_dual_cndmask_b32 v12, v11, v6, s1 :: v_dual_cndmask_b32 v6, -v6, v11, s1
	v_cmp_class_f32_e64 s1, v22, 0x1f8
	v_xor_b32_e32 v11, v22, v12
	s_delay_alu instid0(VALU_DEP_3) | instskip(NEXT) | instid1(VALU_DEP_2)
	v_bitop3_b32 v0, v0, v6, 0x80000000 bitop3:0x6c
	v_xor3_b32 v6, v11, v9, v10
	s_delay_alu instid0(VALU_DEP_2) | instskip(SKIP_2) | instid1(VALU_DEP_4)
	v_cndmask_b32_e64 v0, 0x7fc00000, v0, s1
	v_cndmask_b32_e32 v9, 0x7fc00000, v1, vcc_lo
	v_cndmask_b32_e64 v1, 0x7fc00000, v3, s0
	v_cndmask_b32_e64 v3, 0x7fc00000, v6, s1
	s_delay_alu instid0(VALU_DEP_2) | instskip(SKIP_1) | instid1(VALU_DEP_3)
	v_dual_mul_f32 v6, v1, v0 :: v_dual_mul_f32 v17, v1, v9
	v_dual_mul_f32 v15, v14, v9 :: v_dual_mul_f32 v11, v14, v2
	;; [unrolled: 1-line block ×3, first 2 shown]
	s_delay_alu instid0(VALU_DEP_3) | instskip(SKIP_1) | instid1(VALU_DEP_4)
	v_dual_mul_f32 v12, v17, v0 :: v_dual_mul_f32 v1, v14, v0
	v_dual_mul_f32 v8, v2, v0 :: v_dual_mul_f32 v16, v2, v3
	v_fmac_f32_e32 v6, v15, v3
	s_delay_alu instid0(VALU_DEP_3) | instskip(NEXT) | instid1(VALU_DEP_4)
	v_dual_fma_f32 v10, v15, v0, -v10 :: v_dual_fmac_f32 v12, v14, v3
	v_fma_f32 v17, v17, v3, -v1
.LBB0_1:                                ; =>This Loop Header: Depth=1
                                        ;     Child Loop BB0_2 Depth 2
	v_mov_b32_e32 v0, s18
	s_mov_b32 s21, s17
	s_mov_b64 s[6:7], s[4:5]
	global_load_b128 v[22:25], v0, s[10:11] scale_offset
	s_wait_loadcnt 0x0
	global_load_b128 v[0:3], v25, s[14:15] scale_offset
	v_pk_fma_f32 v[14:15], v[8:9], v[22:23], v[4:5] op_sel_hi:[1,0,1] neg_lo:[1,0,0] neg_hi:[1,0,0]
	v_pk_fma_f32 v[26:27], v[8:9], v[22:23], v[4:5]
	s_delay_alu instid0(VALU_DEP_2) | instskip(NEXT) | instid1(VALU_DEP_1)
	v_mov_b32_e32 v27, v15
	v_pk_fma_f32 v[14:15], v[10:11], v[22:23], v[26:27] op_sel:[0,1,0]
	s_delay_alu instid0(VALU_DEP_1)
	v_pk_fma_f32 v[14:15], v[12:13], v[24:25], v[14:15] op_sel_hi:[1,0,1]
	s_wait_loadcnt 0x0
	v_readfirstlane_b32 s8, v2
	v_readfirstlane_b32 s0, v0
	v_dual_fma_f32 v0, v16, v22, v21 :: v_dual_mov_b32 v2, v3
	s_cmp_gt_f32 s8, 0
	s_delay_alu instid0(VALU_DEP_1)
	v_fmac_f32_e32 v0, v6, v23
	s_cselect_b32 s9, -1, 0
	s_cmp_eq_u32 s0, 0x46
	s_cselect_b32 s19, -1, 0
	s_cmp_eq_u32 s0, 0x45
	v_fmac_f32_e32 v0, v17, v24
	s_cselect_b32 s20, -1, 0
	s_cmp_lt_f32 s8, 0
	s_cselect_b32 s22, -1, 0
	s_delay_alu instid0(SALU_CYCLE_1)
	s_and_b32 s0, s22, exec_lo
	s_cselect_b32 s23, 0x40b00000, 1.0
	s_cselect_b32 s24, 1.0, 0xff7fffff
	s_xor_b32 s25, s8, 0x80000000
.LBB0_2:                                ;   Parent Loop BB0_1 Depth=1
                                        ; =>  This Inner Loop Header: Depth=2
	global_load_b128 v[22:25], v7, s[6:7] offset:-8
	s_wait_xcnt 0x0
	s_add_nc_u64 s[6:7], s[6:7], 16
	s_wait_loadcnt 0x0
	global_load_b128 v[26:29], v25, s[14:15] scale_offset
	v_sub_f32_e32 v3, v0, v23
	v_mov_b32_e32 v23, v24
	s_delay_alu instid0(VALU_DEP_1) | instskip(NEXT) | instid1(VALU_DEP_1)
	v_pk_add_f32 v[22:23], v[14:15], v[22:23] neg_lo:[0,1] neg_hi:[0,1]
	v_pk_mul_f32 v[22:23], v[22:23], v[22:23]
	s_delay_alu instid0(VALU_DEP_1) | instskip(NEXT) | instid1(VALU_DEP_1)
	v_fma_f32 v3, v3, v3, v22
	v_add_f32_e32 v3, v3, v23
	s_delay_alu instid0(VALU_DEP_1) | instskip(SKIP_1) | instid1(VALU_DEP_2)
	v_mul_f32_e32 v20, 0x4f800000, v3
	v_cmp_gt_f32_e32 vcc_lo, 0xf800000, v3
	v_cndmask_b32_e32 v3, v3, v20, vcc_lo
	s_delay_alu instid0(VALU_DEP_1) | instskip(SKIP_1) | instid1(TRANS32_DEP_1)
	v_sqrt_f32_e32 v20, v3
	v_nop
	v_dual_add_nc_u32 v22, -1, v20 :: v_dual_add_nc_u32 v23, 1, v20
	s_wait_xcnt 0x0
	s_delay_alu instid0(VALU_DEP_1) | instskip(NEXT) | instid1(VALU_DEP_1)
	v_dual_fma_f32 v24, -v22, v20, v3 :: v_dual_fma_f32 v25, -v23, v20, v3
	v_cmp_ge_f32_e64 s0, 0, v24
	s_delay_alu instid0(VALU_DEP_1) | instskip(NEXT) | instid1(VALU_DEP_3)
	v_cndmask_b32_e64 v20, v20, v22, s0
	v_cmp_lt_f32_e64 s0, 0, v25
	s_delay_alu instid0(VALU_DEP_1) | instskip(NEXT) | instid1(VALU_DEP_1)
	v_cndmask_b32_e64 v20, v20, v23, s0
	v_mul_f32_e32 v22, 0x37800000, v20
	s_delay_alu instid0(VALU_DEP_1) | instskip(SKIP_3) | instid1(VALU_DEP_3)
	v_cndmask_b32_e32 v20, v20, v22, vcc_lo
	v_cmp_class_f32_e64 vcc_lo, v3, 0x260
	s_wait_loadcnt 0x0
	v_add_f32_e32 v24, v1, v27
	v_cndmask_b32_e32 v20, v20, v3, vcc_lo
	v_readfirstlane_b32 s26, v28
	v_readfirstlane_b32 s1, v26
	v_mov_b32_e32 v22, v29
	v_div_scale_f32 v3, null, v24, v24, 1.0
	v_div_scale_f32 v25, vcc_lo, 1.0, v24, 1.0
	s_cmp_eq_u32 s1, 0x46
	v_rcp_f32_e32 v28, v3
	v_xor_b32_e32 v27, 0x80000000, v3
	s_cselect_b32 s0, -1, 0
	s_delay_alu instid0(SALU_CYCLE_1) | instskip(NEXT) | instid1(SALU_CYCLE_1)
	s_and_b32 s3, s0, s19
	s_and_b32 s3, s3, exec_lo
	s_delay_alu instid0(TRANS32_DEP_1) | instid1(VALU_DEP_1)
	v_fma_f32 v30, v27, v28, 1.0
	s_cselect_b32 s3, 4.0, 2.0
	s_cselect_b32 s27, 0x3e800000, 0.5
	s_cmp_eq_u32 s1, 0x45
	s_delay_alu instid0(VALU_DEP_1) | instskip(SKIP_1) | instid1(VALU_DEP_1)
	v_fmac_f32_e32 v28, v30, v28
	v_sub_f32_e32 v26, v20, v24
	v_cmp_gt_f32_e64 s0, 0, v26
	v_fma_f32 v23, -v26, s27, 1.0
	v_cmp_gt_f32_e64 s1, s3, v26
	s_cselect_b32 s27, -1, 0
	v_cndmask_b32_e64 v29, 0, 0x42980000, s0
	v_cndmask_b32_e64 v23, v23, 1.0, s0
	v_cndmask_b32_e64 v3, 0, 1.0, s1
	s_or_b32 s1, s27, s20
	s_cmp_gt_f32 s26, 0
	s_delay_alu instid0(VALU_DEP_1) | instskip(SKIP_2) | instid1(VALU_DEP_1)
	v_pk_mul_f32 v[22:23], v[2:3], v[22:23]
	s_cselect_b32 s27, -1, 0
	s_cmp_neq_f32 s26, 0
	v_dual_mul_f32 v3, v25, v28 :: v_dual_mul_f32 v22, v22, v23
	s_cselect_b32 s28, -1, 0
	s_cmp_lt_f32 s26, 0
	s_delay_alu instid0(VALU_DEP_1) | instskip(SKIP_1) | instid1(SALU_CYCLE_1)
	v_cndmask_b32_e64 v22, v22, -|v22|, s1
	s_cselect_b32 s1, -1, 0
	s_and_b32 s3, s1, exec_lo
	s_cselect_b32 s29, s23, s24
	s_and_b32 s3, s1, s9
	v_div_scale_f32 v31, s1, 1.0, s29, 1.0
	v_fma_f32 v23, v27, v3, v25
	v_div_scale_f32 v30, null, s29, s29, 1.0
	s_xor_b32 s30, s26, 0x80000000
	s_and_b32 s3, s3, exec_lo
	v_fmac_f32_e32 v3, v23, v28
	v_rcp_f32_e32 v23, v30
	v_cmp_gt_f32_e64 s3, s29, v26
	s_cselect_b32 s26, s30, s26
	s_and_b32 s27, s27, s22
	v_fmac_f32_e32 v25, v27, v3
	v_xor_b32_e32 v27, 0x80000000, v30
	s_and_b32 s27, s27, exec_lo
	s_cselect_b32 s27, s25, s8
	s_add_co_i32 s21, s21, -1
	v_div_fmas_f32 v3, v25, v28, v3
	v_fma_f32 v30, v27, v23, 1.0
	s_mov_b32 vcc_lo, s1
	s_and_b32 s1, s28, s3
	s_cmp_lg_u32 s21, 0
	v_div_fixup_f32 v3, v3, v24, 1.0
	v_fmac_f32_e32 v23, v30, v23
	s_delay_alu instid0(VALU_DEP_2) | instskip(NEXT) | instid1(VALU_DEP_2)
	v_fma_f32 v3, -v20, v3, 1.0
	v_mul_f32_e32 v25, v31, v23
	s_delay_alu instid0(VALU_DEP_2) | instskip(NEXT) | instid1(VALU_DEP_2)
	v_fmac_f32_e32 v19, v3, v29
	v_fma_f32 v28, v27, v25, v31
	s_delay_alu instid0(VALU_DEP_2) | instskip(NEXT) | instid1(VALU_DEP_2)
	v_fmac_f32_e32 v19, 0x42340000, v22
	v_fmac_f32_e32 v25, v28, v23
	s_delay_alu instid0(VALU_DEP_1) | instskip(NEXT) | instid1(VALU_DEP_1)
	v_fmac_f32_e32 v31, v27, v25
	v_div_fmas_f32 v23, v31, v23, v25
	s_delay_alu instid0(VALU_DEP_1) | instskip(SKIP_2) | instid1(VALU_DEP_2)
	v_div_fixup_f32 v20, v23, s29, 1.0
	v_cndmask_b32_e64 v23, 0, 1.0, s1
	s_add_f32 s1, s26, s27
	v_fma_f32 v3, -v26, v20, 1.0
	s_delay_alu instid0(VALU_DEP_2) | instid1(SALU_CYCLE_2)
	v_mul_f32_e32 v20, s1, v23
	s_delay_alu instid0(VALU_DEP_2) | instskip(NEXT) | instid1(VALU_DEP_1)
	v_cndmask_b32_e64 v3, v3, 1.0, s0
	v_fmac_f32_e32 v19, v20, v3
	s_cbranch_scc1 .LBB0_2
; %bb.3:                                ;   in Loop: Header=BB0_1 Depth=1
	s_add_co_i32 s18, s18, 1
	s_delay_alu instid0(SALU_CYCLE_1)
	s_cmp_lg_u32 s18, s16
	s_cbranch_scc1 .LBB0_1
; %bb.4:
	s_and_saveexec_b32 s0, s2
	s_cbranch_execz .LBB0_6
; %bb.5:
	v_mul_f32_e32 v0, 0.5, v19
	global_store_b32 v18, v0, s[12:13] scale_offset
.LBB0_6:
	s_endpgm
	.section	.rodata,"a",@progbits
	.p2align	6, 0x0
	.amdhsa_kernel _ZL11fasten_mainILm1EEviiPK4AtomS2_PKfS4_S4_S4_S4_S4_PfPK8FFParamsi
		.amdhsa_group_segment_fixed_size 0
		.amdhsa_private_segment_fixed_size 0
		.amdhsa_kernarg_size 352
		.amdhsa_user_sgpr_count 2
		.amdhsa_user_sgpr_dispatch_ptr 0
		.amdhsa_user_sgpr_queue_ptr 0
		.amdhsa_user_sgpr_kernarg_segment_ptr 1
		.amdhsa_user_sgpr_dispatch_id 0
		.amdhsa_user_sgpr_kernarg_preload_length 0
		.amdhsa_user_sgpr_kernarg_preload_offset 0
		.amdhsa_user_sgpr_private_segment_size 0
		.amdhsa_wavefront_size32 1
		.amdhsa_uses_dynamic_stack 0
		.amdhsa_enable_private_segment 0
		.amdhsa_system_sgpr_workgroup_id_x 1
		.amdhsa_system_sgpr_workgroup_id_y 0
		.amdhsa_system_sgpr_workgroup_id_z 0
		.amdhsa_system_sgpr_workgroup_info 0
		.amdhsa_system_vgpr_workitem_id 0
		.amdhsa_next_free_vgpr 49
		.amdhsa_next_free_sgpr 31
		.amdhsa_named_barrier_count 0
		.amdhsa_reserve_vcc 1
		.amdhsa_float_round_mode_32 0
		.amdhsa_float_round_mode_16_64 0
		.amdhsa_float_denorm_mode_32 3
		.amdhsa_float_denorm_mode_16_64 3
		.amdhsa_fp16_overflow 0
		.amdhsa_memory_ordered 1
		.amdhsa_forward_progress 1
		.amdhsa_inst_pref_size 32
		.amdhsa_round_robin_scheduling 0
		.amdhsa_exception_fp_ieee_invalid_op 0
		.amdhsa_exception_fp_denorm_src 0
		.amdhsa_exception_fp_ieee_div_zero 0
		.amdhsa_exception_fp_ieee_overflow 0
		.amdhsa_exception_fp_ieee_underflow 0
		.amdhsa_exception_fp_ieee_inexact 0
		.amdhsa_exception_int_div_zero 0
	.end_amdhsa_kernel
	.section	.text._ZL11fasten_mainILm1EEviiPK4AtomS2_PKfS4_S4_S4_S4_S4_PfPK8FFParamsi,"axG",@progbits,_ZL11fasten_mainILm1EEviiPK4AtomS2_PKfS4_S4_S4_S4_S4_PfPK8FFParamsi,comdat
.Lfunc_end0:
	.size	_ZL11fasten_mainILm1EEviiPK4AtomS2_PKfS4_S4_S4_S4_S4_PfPK8FFParamsi, .Lfunc_end0-_ZL11fasten_mainILm1EEviiPK4AtomS2_PKfS4_S4_S4_S4_S4_PfPK8FFParamsi
                                        ; -- End function
	.set _ZL11fasten_mainILm1EEviiPK4AtomS2_PKfS4_S4_S4_S4_S4_PfPK8FFParamsi.num_vgpr, 49
	.set _ZL11fasten_mainILm1EEviiPK4AtomS2_PKfS4_S4_S4_S4_S4_PfPK8FFParamsi.num_agpr, 0
	.set _ZL11fasten_mainILm1EEviiPK4AtomS2_PKfS4_S4_S4_S4_S4_PfPK8FFParamsi.numbered_sgpr, 31
	.set _ZL11fasten_mainILm1EEviiPK4AtomS2_PKfS4_S4_S4_S4_S4_PfPK8FFParamsi.num_named_barrier, 0
	.set _ZL11fasten_mainILm1EEviiPK4AtomS2_PKfS4_S4_S4_S4_S4_PfPK8FFParamsi.private_seg_size, 0
	.set _ZL11fasten_mainILm1EEviiPK4AtomS2_PKfS4_S4_S4_S4_S4_PfPK8FFParamsi.uses_vcc, 1
	.set _ZL11fasten_mainILm1EEviiPK4AtomS2_PKfS4_S4_S4_S4_S4_PfPK8FFParamsi.uses_flat_scratch, 0
	.set _ZL11fasten_mainILm1EEviiPK4AtomS2_PKfS4_S4_S4_S4_S4_PfPK8FFParamsi.has_dyn_sized_stack, 0
	.set _ZL11fasten_mainILm1EEviiPK4AtomS2_PKfS4_S4_S4_S4_S4_PfPK8FFParamsi.has_recursion, 0
	.set _ZL11fasten_mainILm1EEviiPK4AtomS2_PKfS4_S4_S4_S4_S4_PfPK8FFParamsi.has_indirect_call, 0
	.section	.AMDGPU.csdata,"",@progbits
; Kernel info:
; codeLenInByte = 4068
; TotalNumSgprs: 33
; NumVgprs: 49
; ScratchSize: 0
; MemoryBound: 0
; FloatMode: 240
; IeeeMode: 1
; LDSByteSize: 0 bytes/workgroup (compile time only)
; SGPRBlocks: 0
; VGPRBlocks: 3
; NumSGPRsForWavesPerEU: 33
; NumVGPRsForWavesPerEU: 49
; NamedBarCnt: 0
; Occupancy: 16
; WaveLimiterHint : 1
; COMPUTE_PGM_RSRC2:SCRATCH_EN: 0
; COMPUTE_PGM_RSRC2:USER_SGPR: 2
; COMPUTE_PGM_RSRC2:TRAP_HANDLER: 0
; COMPUTE_PGM_RSRC2:TGID_X_EN: 1
; COMPUTE_PGM_RSRC2:TGID_Y_EN: 0
; COMPUTE_PGM_RSRC2:TGID_Z_EN: 0
; COMPUTE_PGM_RSRC2:TIDIG_COMP_CNT: 0
	.section	.text._ZL11fasten_mainILm2EEviiPK4AtomS2_PKfS4_S4_S4_S4_S4_PfPK8FFParamsi,"axG",@progbits,_ZL11fasten_mainILm2EEviiPK4AtomS2_PKfS4_S4_S4_S4_S4_PfPK8FFParamsi,comdat
	.globl	_ZL11fasten_mainILm2EEviiPK4AtomS2_PKfS4_S4_S4_S4_S4_PfPK8FFParamsi ; -- Begin function _ZL11fasten_mainILm2EEviiPK4AtomS2_PKfS4_S4_S4_S4_S4_PfPK8FFParamsi
	.p2align	8
	.type	_ZL11fasten_mainILm2EEviiPK4AtomS2_PKfS4_S4_S4_S4_S4_PfPK8FFParamsi,@function
_ZL11fasten_mainILm2EEviiPK4AtomS2_PKfS4_S4_S4_S4_S4_PfPK8FFParamsi: ; @_ZL11fasten_mainILm2EEviiPK4AtomS2_PKfS4_S4_S4_S4_S4_PfPK8FFParamsi
; %bb.0:
	s_load_b64 s[4:5], s[0:1], 0x4
	s_clause 0x1
	s_load_b32 s6, s[2:3], 0x6c
	s_load_b32 s7, s[2:3], 0x58
	v_and_b32_e32 v1, 0x3ff, v0
	v_bfe_u32 v3, v0, 10, 10
	s_wait_xcnt 0x0
	s_and_b32 s0, ttmp6, 15
	v_bfe_u32 v0, v0, 20, 10
	s_load_b512 s[8:23], s[2:3], 0x8
	s_mov_b32 s30, -1
	s_mov_b32 s27, 0x7fffff
	s_mov_b64 s[24:25], 0xfe5163ab
	s_mov_b32 s28, 0xb94c1982
	s_mov_b32 s29, 0x37d75334
	;; [unrolled: 1-line block ×3, first 2 shown]
	s_wait_kmcnt 0x0
	s_lshr_b32 s1, s4, 16
	s_bfe_u32 s4, ttmp6, 0x4000c
	s_mul_i32 s1, s1, s5
	s_add_co_i32 s4, s4, 1
	v_mul_lo_u32 v2, s1, v1
	s_mul_i32 s4, ttmp9, s4
	s_getreg_b32 s1, hwreg(HW_REG_IB_STS2, 6, 4)
	s_add_co_i32 s0, s0, s4
	s_and_b32 s26, s6, 0xffff
	v_mul_u32_u24_e32 v3, s5, v3
	s_cmp_eq_u32 s1, 0
	s_mov_b32 s5, 0
	s_cselect_b32 s0, ttmp9, s0
	s_add_co_i32 s1, s7, -2
	s_mul_i32 s0, s0, s26
	v_add3_u32 v0, v2, v3, v0
	v_lshl_add_u32 v38, s0, 1, v1
	s_mov_b32 s6, 0
	s_delay_alu instid0(VALU_DEP_2) | instskip(NEXT) | instid1(VALU_DEP_2)
	v_mul_lo_u32 v20, 0x60, v0
	v_cmp_gt_i32_e64 s0, s7, v38
	v_mov_b32_e32 v13, 0
	s_mov_b32 s7, 0
	v_cndmask_b32_e64 v14, s1, v38, s0
	s_delay_alu instid0(VALU_DEP_1)
	v_dual_ashrrev_i32 v15, 31, v14 :: v_dual_add_nc_u32 v16, 48, v20
	v_mov_b32_e32 v17, v20
.LBB1_1:                                ; =>This Inner Loop Header: Depth=1
	s_mul_i32 s4, s31, s26
                                        ; implicit-def: $vgpr6
                                        ; implicit-def: $vgpr5
	s_delay_alu instid0(VALU_DEP_2) | instid1(SALU_CYCLE_1)
	v_add_nc_u64_e32 v[0:1], s[4:5], v[14:15]
	s_delay_alu instid0(VALU_DEP_1)
	v_lshl_add_u64 v[2:3], v[0:1], 2, s[12:13]
	global_load_b32 v2, v[2:3], off
	s_wait_loadcnt 0x0
	v_and_b32_e32 v4, 0x7fffffff, v2
	v_cmp_ngt_f32_e64 s33, 0x48000000, |v2|
	s_wait_xcnt 0x0
	s_delay_alu instid0(VALU_DEP_2) | instskip(SKIP_1) | instid1(VALU_DEP_2)
	v_lshrrev_b32_e32 v3, 23, v4
	v_and_or_b32 v12, v4, s27, 0x800000
	v_add_nc_u32_e32 v3, 0xffffff88, v3
	s_and_saveexec_b32 s1, s33
	s_delay_alu instid0(SALU_CYCLE_1)
	s_xor_b32 s34, exec_lo, s1
	s_cbranch_execz .LBB1_3
; %bb.2:                                ;   in Loop: Header=BB1_1 Depth=1
	v_mul_u64_e32 v[6:7], s[24:25], v[12:13]
	v_mov_b32_e32 v9, v13
	v_cmp_lt_u32_e32 vcc_lo, 63, v3
	v_cndmask_b32_e64 v5, 0, 0xffffffc0, vcc_lo
	s_delay_alu instid0(VALU_DEP_4) | instskip(NEXT) | instid1(VALU_DEP_1)
	v_mov_b32_e32 v8, v7
	v_mad_nc_u64_u32 v[8:9], 0x3c439041, v12, v[8:9]
	s_delay_alu instid0(VALU_DEP_1) | instskip(NEXT) | instid1(VALU_DEP_1)
	v_dual_mov_b32 v11, v13 :: v_dual_mov_b32 v10, v9
	v_mad_nc_u64_u32 v[10:11], 0xdb629599, v12, v[10:11]
	s_delay_alu instid0(VALU_DEP_1) | instskip(NEXT) | instid1(VALU_DEP_1)
	v_dual_mov_b32 v19, v13 :: v_dual_mov_b32 v18, v11
	;; [unrolled: 3-line block ×3, first 2 shown]
	v_mad_nc_u64_u32 v[22:23], 0xfc2757d1, v12, v[22:23]
	s_delay_alu instid0(VALU_DEP_1) | instskip(NEXT) | instid1(VALU_DEP_2)
	v_dual_mov_b32 v25, v13 :: v_dual_mov_b32 v24, v23
	v_cndmask_b32_e32 v21, v22, v10, vcc_lo
	s_delay_alu instid0(VALU_DEP_2) | instskip(SKIP_1) | instid1(VALU_DEP_2)
	v_mad_nc_u64_u32 v[24:25], 0x4e441529, v12, v[24:25]
	v_add_nc_u32_e32 v5, v5, v3
	v_dual_mov_b32 v27, v13 :: v_dual_mov_b32 v26, v25
	s_delay_alu instid0(VALU_DEP_3) | instskip(NEXT) | instid1(VALU_DEP_3)
	v_cndmask_b32_e32 v9, v24, v18, vcc_lo
	v_cmp_lt_u32_e64 s1, 31, v5
	s_delay_alu instid0(VALU_DEP_3) | instskip(NEXT) | instid1(VALU_DEP_2)
	v_mad_nc_u64_u32 v[26:27], 0xa2f9836e, v12, v[26:27]
	v_cndmask_b32_e64 v7, 0, 0xffffffe0, s1
	s_delay_alu instid0(VALU_DEP_1) | instskip(NEXT) | instid1(VALU_DEP_1)
	v_dual_add_nc_u32 v5, v7, v5 :: v_dual_cndmask_b32 v11, v26, v22, vcc_lo
	v_cmp_lt_u32_e64 s4, 31, v5
	s_delay_alu instid0(VALU_DEP_4) | instskip(NEXT) | instid1(VALU_DEP_2)
	v_cndmask_b32_e32 v19, v27, v24, vcc_lo
	v_cndmask_b32_e64 v7, 0, 0xffffffe0, s4
	s_delay_alu instid0(VALU_DEP_1) | instskip(SKIP_1) | instid1(VALU_DEP_4)
	v_dual_add_nc_u32 v5, v7, v5 :: v_dual_cndmask_b32 v7, v18, v8, vcc_lo
	v_cndmask_b32_e64 v8, v11, v9, s1
	v_dual_cndmask_b32 v11, v19, v11, s1 :: v_dual_cndmask_b32 v9, v9, v21, s1
	s_delay_alu instid0(VALU_DEP_3) | instskip(NEXT) | instid1(VALU_DEP_2)
	v_dual_cndmask_b32 v19, v21, v7, s1 :: v_dual_sub_nc_u32 v18, 32, v5
	v_dual_cndmask_b32 v11, v11, v8, s4 :: v_dual_cndmask_b32 v8, v8, v9, s4
	s_delay_alu instid0(VALU_DEP_2) | instskip(NEXT) | instid1(VALU_DEP_2)
	v_cndmask_b32_e64 v9, v9, v19, s4
	v_alignbit_b32 v21, v11, v8, v18
	v_cndmask_b32_e32 v6, v10, v6, vcc_lo
	v_cmp_eq_u32_e32 vcc_lo, 0, v5
	s_delay_alu instid0(VALU_DEP_4) | instskip(NEXT) | instid1(VALU_DEP_3)
	v_alignbit_b32 v10, v8, v9, v18
	v_dual_cndmask_b32 v5, v21, v11, vcc_lo :: v_dual_cndmask_b32 v6, v7, v6, s1
	s_delay_alu instid0(VALU_DEP_2) | instskip(NEXT) | instid1(VALU_DEP_2)
	v_cndmask_b32_e32 v7, v10, v8, vcc_lo
	v_bfe_u32 v8, v5, 29, 1
	s_delay_alu instid0(VALU_DEP_3) | instskip(NEXT) | instid1(VALU_DEP_3)
	v_cndmask_b32_e64 v6, v19, v6, s4
	v_alignbit_b32 v10, v5, v7, 30
	s_delay_alu instid0(VALU_DEP_3) | instskip(NEXT) | instid1(VALU_DEP_3)
	v_sub_nc_u32_e32 v11, 0, v8
	v_alignbit_b32 v18, v9, v6, v18
	s_delay_alu instid0(VALU_DEP_2) | instskip(NEXT) | instid1(VALU_DEP_2)
	v_xor_b32_e32 v10, v10, v11
	v_cndmask_b32_e32 v9, v18, v9, vcc_lo
	s_delay_alu instid0(VALU_DEP_2) | instskip(NEXT) | instid1(VALU_DEP_2)
	v_clz_i32_u32_e32 v18, v10
	v_alignbit_b32 v7, v7, v9, 30
	s_delay_alu instid0(VALU_DEP_2) | instskip(NEXT) | instid1(VALU_DEP_2)
	v_min_u32_e32 v18, 32, v18
	v_xor_b32_e32 v7, v7, v11
	v_alignbit_b32 v6, v9, v6, 30
	s_delay_alu instid0(VALU_DEP_3) | instskip(NEXT) | instid1(VALU_DEP_2)
	v_dual_sub_nc_u32 v9, 31, v18 :: v_dual_lshlrev_b32 v19, 23, v18
	v_dual_lshrrev_b32 v11, 29, v5 :: v_dual_bitop2_b32 v6, v6, v11 bitop3:0x14
	s_delay_alu instid0(VALU_DEP_2) | instskip(NEXT) | instid1(VALU_DEP_2)
	v_alignbit_b32 v10, v10, v7, v9
	v_alignbit_b32 v6, v7, v6, v9
	s_delay_alu instid0(VALU_DEP_3) | instskip(NEXT) | instid1(VALU_DEP_2)
	v_lshlrev_b32_e32 v7, 31, v11
	v_alignbit_b32 v9, v10, v6, 9
	s_delay_alu instid0(VALU_DEP_2) | instskip(SKIP_1) | instid1(VALU_DEP_3)
	v_dual_lshrrev_b32 v10, 9, v10 :: v_dual_bitop2_b32 v11, 0.5, v7 bitop3:0x54
	v_or_b32_e32 v7, 0x33000000, v7
	v_clz_i32_u32_e32 v21, v9
	s_delay_alu instid0(VALU_DEP_3) | instskip(NEXT) | instid1(VALU_DEP_2)
	v_sub_nc_u32_e32 v11, v11, v19
	v_min_u32_e32 v19, 32, v21
	s_delay_alu instid0(VALU_DEP_1) | instskip(NEXT) | instid1(VALU_DEP_3)
	v_add_lshl_u32 v18, v19, v18, 23
	v_or_b32_e32 v10, v10, v11
	v_not_b32_e32 v11, v19
	s_delay_alu instid0(VALU_DEP_3) | instskip(NEXT) | instid1(VALU_DEP_3)
	v_sub_nc_u32_e32 v7, v7, v18
	v_mul_f32_e32 v21, 0x3fc90fda, v10
	s_delay_alu instid0(VALU_DEP_3) | instskip(NEXT) | instid1(VALU_DEP_2)
	v_alignbit_b32 v6, v9, v6, v11
	v_fma_f32 v9, 0x3fc90fda, v10, -v21
	s_delay_alu instid0(VALU_DEP_2) | instskip(NEXT) | instid1(VALU_DEP_2)
	v_lshrrev_b32_e32 v6, 9, v6
	v_fmac_f32_e32 v9, 0x33a22168, v10
	s_delay_alu instid0(VALU_DEP_2) | instskip(NEXT) | instid1(VALU_DEP_1)
	v_or_b32_e32 v6, v7, v6
	v_dual_fmac_f32 v9, 0x3fc90fda, v6 :: v_dual_lshrrev_b32 v6, 30, v5
	s_delay_alu instid0(VALU_DEP_1)
	v_dual_add_f32 v5, v21, v9 :: v_dual_add_nc_u32 v6, v8, v6
.LBB1_3:                                ;   in Loop: Header=BB1_1 Depth=1
	s_or_saveexec_b32 s1, s34
	v_mul_f32_e64 v7, 0x3f22f983, |v2|
	s_delay_alu instid0(VALU_DEP_1)
	v_rndne_f32_e32 v7, v7
	s_xor_b32 exec_lo, exec_lo, s1
; %bb.4:                                ;   in Loop: Header=BB1_1 Depth=1
	s_delay_alu instid0(VALU_DEP_1) | instskip(SKIP_1) | instid1(VALU_DEP_2)
	v_fma_f32 v5, 0xbfc90fda, v7, |v2|
	v_cvt_i32_f32_e32 v6, v7
	v_fmac_f32_e32 v5, 0xb3a22168, v7
	s_delay_alu instid0(VALU_DEP_1)
	v_fmac_f32_e32 v5, 0xa7c234c4, v7
; %bb.5:                                ;   in Loop: Header=BB1_1 Depth=1
	s_or_b32 exec_lo, exec_lo, s1
                                        ; implicit-def: $vgpr10
                                        ; implicit-def: $vgpr8
	s_and_saveexec_b32 s1, s33
	s_delay_alu instid0(SALU_CYCLE_1)
	s_xor_b32 s33, exec_lo, s1
	s_cbranch_execz .LBB1_7
; %bb.6:                                ;   in Loop: Header=BB1_1 Depth=1
	v_mul_u64_e32 v[8:9], s[24:25], v[12:13]
	v_mov_b32_e32 v11, v13
	v_cmp_lt_u32_e32 vcc_lo, 63, v3
	v_mov_b32_e32 v29, v13
	v_cndmask_b32_e64 v7, 0, 0xffffffc0, vcc_lo
	s_delay_alu instid0(VALU_DEP_1) | instskip(NEXT) | instid1(VALU_DEP_1)
	v_add_nc_u32_e32 v3, v7, v3
	v_cmp_lt_u32_e64 s1, 31, v3
	s_delay_alu instid0(VALU_DEP_1) | instskip(SKIP_1) | instid1(VALU_DEP_1)
	v_cndmask_b32_e64 v7, 0, 0xffffffe0, s1
	v_mov_b32_e32 v10, v9
	v_mad_nc_u64_u32 v[10:11], 0x3c439041, v12, v[10:11]
	s_delay_alu instid0(VALU_DEP_1) | instskip(NEXT) | instid1(VALU_DEP_1)
	v_dual_mov_b32 v19, v13 :: v_dual_mov_b32 v18, v11
	v_mad_nc_u64_u32 v[18:19], 0xdb629599, v12, v[18:19]
	s_delay_alu instid0(VALU_DEP_1) | instskip(NEXT) | instid1(VALU_DEP_2)
	v_dual_mov_b32 v23, v13 :: v_dual_mov_b32 v22, v19
	v_cndmask_b32_e32 v8, v18, v8, vcc_lo
	s_delay_alu instid0(VALU_DEP_2) | instskip(NEXT) | instid1(VALU_DEP_1)
	v_mad_nc_u64_u32 v[22:23], 0xf534ddc0, v12, v[22:23]
	v_dual_mov_b32 v25, v13 :: v_dual_mov_b32 v24, v23
	s_delay_alu instid0(VALU_DEP_1) | instskip(NEXT) | instid1(VALU_DEP_1)
	v_mad_nc_u64_u32 v[24:25], 0xfc2757d1, v12, v[24:25]
	v_dual_mov_b32 v27, v13 :: v_dual_mov_b32 v26, v25
	s_delay_alu instid0(VALU_DEP_1) | instskip(NEXT) | instid1(VALU_DEP_1)
	v_mad_nc_u64_u32 v[26:27], 0x4e441529, v12, v[26:27]
	v_dual_mov_b32 v28, v27 :: v_dual_cndmask_b32 v9, v26, v22
	s_delay_alu instid0(VALU_DEP_1) | instskip(NEXT) | instid1(VALU_DEP_1)
	v_mad_nc_u64_u32 v[28:29], 0xa2f9836e, v12, v[28:29]
	v_dual_add_nc_u32 v3, v7, v3 :: v_dual_cndmask_b32 v11, v28, v24, vcc_lo
	s_delay_alu instid0(VALU_DEP_1) | instskip(SKIP_1) | instid1(VALU_DEP_2)
	v_cmp_lt_u32_e64 s4, 31, v3
	v_cndmask_b32_e32 v19, v24, v18, vcc_lo
	v_cndmask_b32_e64 v7, 0, 0xffffffe0, s4
	s_delay_alu instid0(VALU_DEP_1) | instskip(SKIP_1) | instid1(VALU_DEP_2)
	v_dual_cndmask_b32 v12, v29, v26 :: v_dual_add_nc_u32 v3, v7, v3
	v_dual_cndmask_b32 v7, v22, v10, vcc_lo :: v_dual_cndmask_b32 v10, v11, v9, s1
	v_cndmask_b32_e64 v11, v12, v11, s1
	v_cndmask_b32_e64 v9, v9, v19, s1
	s_delay_alu instid0(VALU_DEP_4) | instskip(NEXT) | instid1(VALU_DEP_4)
	v_sub_nc_u32_e32 v12, 32, v3
	v_cndmask_b32_e64 v19, v19, v7, s1
	v_cmp_eq_u32_e32 vcc_lo, 0, v3
	s_delay_alu instid0(VALU_DEP_4) | instskip(NEXT) | instid1(VALU_DEP_3)
	v_dual_cndmask_b32 v11, v11, v10, s4 :: v_dual_cndmask_b32 v10, v10, v9, s4
	v_dual_cndmask_b32 v7, v7, v8, s1 :: v_dual_cndmask_b32 v9, v9, v19, s4
	s_delay_alu instid0(VALU_DEP_2) | instskip(NEXT) | instid1(VALU_DEP_2)
	v_alignbit_b32 v21, v11, v10, v12
	v_alignbit_b32 v18, v10, v9, v12
	s_delay_alu instid0(VALU_DEP_1) | instskip(NEXT) | instid1(VALU_DEP_1)
	v_dual_cndmask_b32 v3, v21, v11 :: v_dual_cndmask_b32 v8, v18, v10
	v_bfe_u32 v10, v3, 29, 1
	v_cndmask_b32_e64 v7, v19, v7, s4
	s_delay_alu instid0(VALU_DEP_3) | instskip(NEXT) | instid1(VALU_DEP_3)
	v_alignbit_b32 v11, v3, v8, 30
	v_sub_nc_u32_e32 v18, 0, v10
	s_delay_alu instid0(VALU_DEP_3) | instskip(NEXT) | instid1(VALU_DEP_1)
	v_alignbit_b32 v12, v9, v7, v12
	v_dual_cndmask_b32 v9, v12, v9, vcc_lo :: v_dual_bitop2_b32 v11, v11, v18 bitop3:0x14
	s_delay_alu instid0(VALU_DEP_1) | instskip(NEXT) | instid1(VALU_DEP_2)
	v_clz_i32_u32_e32 v12, v11
	v_alignbit_b32 v8, v8, v9, 30
	v_alignbit_b32 v7, v9, v7, 30
	s_delay_alu instid0(VALU_DEP_3) | instskip(NEXT) | instid1(VALU_DEP_3)
	v_min_u32_e32 v12, 32, v12
	v_xor_b32_e32 v8, v8, v18
	s_delay_alu instid0(VALU_DEP_3) | instskip(NEXT) | instid1(VALU_DEP_3)
	v_dual_lshrrev_b32 v18, 29, v3 :: v_dual_bitop2_b32 v7, v7, v18 bitop3:0x14
	v_dual_lshrrev_b32 v3, 30, v3 :: v_dual_sub_nc_u32 v9, 31, v12
	s_delay_alu instid0(VALU_DEP_1) | instskip(NEXT) | instid1(VALU_DEP_2)
	v_dual_lshlrev_b32 v19, 23, v12 :: v_dual_add_nc_u32 v10, v10, v3
	v_alignbit_b32 v11, v11, v8, v9
	s_delay_alu instid0(VALU_DEP_4) | instskip(SKIP_1) | instid1(VALU_DEP_2)
	v_alignbit_b32 v7, v8, v7, v9
	v_lshlrev_b32_e32 v8, 31, v18
	v_alignbit_b32 v9, v11, v7, 9
	s_delay_alu instid0(VALU_DEP_2) | instskip(SKIP_1) | instid1(VALU_DEP_3)
	v_dual_lshrrev_b32 v11, 9, v11 :: v_dual_bitop2_b32 v18, 0.5, v8 bitop3:0x54
	v_or_b32_e32 v8, 0x33000000, v8
	v_clz_i32_u32_e32 v21, v9
	s_delay_alu instid0(VALU_DEP_3) | instskip(NEXT) | instid1(VALU_DEP_2)
	v_sub_nc_u32_e32 v18, v18, v19
	v_min_u32_e32 v19, 32, v21
	s_delay_alu instid0(VALU_DEP_1) | instskip(NEXT) | instid1(VALU_DEP_1)
	v_add_lshl_u32 v12, v19, v12, 23
	v_dual_sub_nc_u32 v8, v8, v12 :: v_dual_bitop2_b32 v11, v11, v18 bitop3:0x54
	v_not_b32_e32 v18, v19
	s_delay_alu instid0(VALU_DEP_1) | instskip(NEXT) | instid1(VALU_DEP_1)
	v_alignbit_b32 v7, v9, v7, v18
	v_lshrrev_b32_e32 v7, 9, v7
	s_delay_alu instid0(VALU_DEP_4) | instskip(NEXT) | instid1(VALU_DEP_2)
	v_mul_f32_e32 v21, 0x3fc90fda, v11
	v_or_b32_e32 v7, v8, v7
	s_delay_alu instid0(VALU_DEP_2) | instskip(NEXT) | instid1(VALU_DEP_1)
	v_fma_f32 v9, 0x3fc90fda, v11, -v21
	v_fmac_f32_e32 v9, 0x33a22168, v11
	s_delay_alu instid0(VALU_DEP_1) | instskip(NEXT) | instid1(VALU_DEP_1)
	v_fmac_f32_e32 v9, 0x3fc90fda, v7
                                        ; implicit-def: $vgpr7
	v_add_f32_e32 v8, v21, v9
	s_and_not1_saveexec_b32 s1, s33
	s_cbranch_execnz .LBB1_8
	s_branch .LBB1_9
.LBB1_7:                                ;   in Loop: Header=BB1_1 Depth=1
	s_and_not1_saveexec_b32 s1, s33
.LBB1_8:                                ;   in Loop: Header=BB1_1 Depth=1
	v_fma_f32 v8, 0xbfc90fda, v7, |v2|
	v_cvt_i32_f32_e32 v10, v7
	s_delay_alu instid0(VALU_DEP_2) | instskip(NEXT) | instid1(VALU_DEP_1)
	v_fmac_f32_e32 v8, 0xb3a22168, v7
	v_fmac_f32_e32 v8, 0xa7c234c4, v7
.LBB1_9:                                ;   in Loop: Header=BB1_1 Depth=1
	s_or_b32 exec_lo, exec_lo, s1
	v_lshl_add_u64 v[18:19], v[0:1], 2, s[14:15]
                                        ; implicit-def: $vgpr21
	global_load_b32 v9, v[18:19], off
                                        ; implicit-def: $vgpr19
	s_wait_loadcnt 0x0
	s_wait_xcnt 0x0
	v_and_b32_e32 v18, 0x7fffffff, v9
	v_cmp_ngt_f32_e64 s33, 0x48000000, |v9|
	s_delay_alu instid0(VALU_DEP_2) | instskip(SKIP_1) | instid1(VALU_DEP_2)
	v_lshrrev_b32_e32 v3, 23, v18
	v_and_or_b32 v12, v18, s27, 0x800000
	v_add_nc_u32_e32 v3, 0xffffff88, v3
	s_and_saveexec_b32 s1, s33
	s_delay_alu instid0(SALU_CYCLE_1)
	s_xor_b32 s34, exec_lo, s1
	s_cbranch_execz .LBB1_11
; %bb.10:                               ;   in Loop: Header=BB1_1 Depth=1
	v_mul_u64_e32 v[22:23], s[24:25], v[12:13]
	v_mov_b32_e32 v25, v13
	v_cmp_lt_u32_e32 vcc_lo, 63, v3
	v_mov_b32_e32 v35, v13
	v_cndmask_b32_e64 v7, 0, 0xffffffc0, vcc_lo
	s_delay_alu instid0(VALU_DEP_1) | instskip(NEXT) | instid1(VALU_DEP_1)
	v_add_nc_u32_e32 v7, v7, v3
	v_cmp_lt_u32_e64 s1, 31, v7
	s_delay_alu instid0(VALU_DEP_1) | instskip(NEXT) | instid1(VALU_DEP_1)
	v_cndmask_b32_e64 v11, 0, 0xffffffe0, s1
	v_add_nc_u32_e32 v7, v11, v7
	v_mov_b32_e32 v24, v23
	s_delay_alu instid0(VALU_DEP_2) | instskip(NEXT) | instid1(VALU_DEP_2)
	v_cmp_lt_u32_e64 s4, 31, v7
	v_mad_nc_u64_u32 v[24:25], 0x3c439041, v12, v[24:25]
	v_mov_b32_e32 v27, v13
	s_delay_alu instid0(VALU_DEP_3) | instskip(NEXT) | instid1(VALU_DEP_3)
	v_cndmask_b32_e64 v11, 0, 0xffffffe0, s4
	v_mov_b32_e32 v26, v25
	s_delay_alu instid0(VALU_DEP_1) | instskip(NEXT) | instid1(VALU_DEP_1)
	v_mad_nc_u64_u32 v[26:27], 0xdb629599, v12, v[26:27]
	v_dual_mov_b32 v29, v13 :: v_dual_mov_b32 v28, v27
	s_delay_alu instid0(VALU_DEP_2) | instskip(NEXT) | instid1(VALU_DEP_2)
	v_cndmask_b32_e32 v22, v26, v22, vcc_lo
	v_mad_nc_u64_u32 v[28:29], 0xf534ddc0, v12, v[28:29]
	v_dual_mov_b32 v31, v13 :: v_dual_add_nc_u32 v7, v11, v7
	s_delay_alu instid0(VALU_DEP_2) | instskip(NEXT) | instid1(VALU_DEP_1)
	v_dual_cndmask_b32 v11, v28, v24 :: v_dual_mov_b32 v30, v29
	v_mad_nc_u64_u32 v[30:31], 0xfc2757d1, v12, v[30:31]
	s_delay_alu instid0(VALU_DEP_1) | instskip(NEXT) | instid1(VALU_DEP_2)
	v_dual_mov_b32 v33, v13 :: v_dual_mov_b32 v32, v31
	v_cndmask_b32_e32 v25, v30, v26, vcc_lo
	s_delay_alu instid0(VALU_DEP_2) | instskip(NEXT) | instid1(VALU_DEP_1)
	v_mad_nc_u64_u32 v[32:33], 0x4e441529, v12, v[32:33]
	v_mov_b32_e32 v34, v33
	s_delay_alu instid0(VALU_DEP_1) | instskip(NEXT) | instid1(VALU_DEP_1)
	v_mad_nc_u64_u32 v[34:35], 0xa2f9836e, v12, v[34:35]
	v_dual_cndmask_b32 v19, v32, v28, vcc_lo :: v_dual_cndmask_b32 v21, v34, v30, vcc_lo
	s_delay_alu instid0(VALU_DEP_2) | instskip(SKIP_1) | instid1(VALU_DEP_2)
	v_cndmask_b32_e32 v23, v35, v32, vcc_lo
	v_cmp_eq_u32_e32 vcc_lo, 0, v7
	v_dual_cndmask_b32 v24, v21, v19, s1 :: v_dual_cndmask_b32 v21, v23, v21, s1
	v_dual_cndmask_b32 v19, v19, v25, s1 :: v_dual_sub_nc_u32 v23, 32, v7
	v_dual_cndmask_b32 v25, v25, v11, s1 :: v_dual_cndmask_b32 v11, v11, v22, s1
	s_delay_alu instid0(VALU_DEP_2) | instskip(NEXT) | instid1(VALU_DEP_2)
	v_dual_cndmask_b32 v21, v21, v24, s4 :: v_dual_cndmask_b32 v24, v24, v19, s4
	v_dual_cndmask_b32 v19, v19, v25, s4 :: v_dual_cndmask_b32 v11, v25, v11, s4
	s_delay_alu instid0(VALU_DEP_2) | instskip(NEXT) | instid1(VALU_DEP_2)
	v_alignbit_b32 v27, v21, v24, v23
	v_alignbit_b32 v26, v24, v19, v23
	s_delay_alu instid0(VALU_DEP_1) | instskip(NEXT) | instid1(VALU_DEP_4)
	v_dual_cndmask_b32 v7, v27, v21, vcc_lo :: v_dual_cndmask_b32 v21, v26, v24, vcc_lo
	v_alignbit_b32 v23, v19, v11, v23
	s_delay_alu instid0(VALU_DEP_2) | instskip(NEXT) | instid1(VALU_DEP_3)
	v_bfe_u32 v22, v7, 29, 1
	v_alignbit_b32 v24, v7, v21, 30
	s_delay_alu instid0(VALU_DEP_2) | instskip(NEXT) | instid1(VALU_DEP_1)
	v_dual_cndmask_b32 v19, v23, v19, vcc_lo :: v_dual_sub_nc_u32 v25, 0, v22
	v_alignbit_b32 v21, v21, v19, 30
	v_alignbit_b32 v11, v19, v11, 30
	s_delay_alu instid0(VALU_DEP_3) | instskip(NEXT) | instid1(VALU_DEP_2)
	v_xor_b32_e32 v24, v24, v25
	v_xor_b32_e32 v11, v11, v25
	s_delay_alu instid0(VALU_DEP_2) | instskip(NEXT) | instid1(VALU_DEP_1)
	v_clz_i32_u32_e32 v23, v24
	v_min_u32_e32 v23, 32, v23
	v_dual_lshrrev_b32 v25, 29, v7 :: v_dual_bitop2_b32 v19, v21, v25 bitop3:0x14
	s_delay_alu instid0(VALU_DEP_2) | instskip(NEXT) | instid1(VALU_DEP_1)
	v_dual_sub_nc_u32 v21, 31, v23 :: v_dual_lshlrev_b32 v26, 23, v23
	v_alignbit_b32 v24, v24, v19, v21
	v_alignbit_b32 v11, v19, v11, v21
	s_delay_alu instid0(VALU_DEP_4) | instskip(NEXT) | instid1(VALU_DEP_2)
	v_lshlrev_b32_e32 v19, 31, v25
	v_alignbit_b32 v21, v24, v11, 9
	s_delay_alu instid0(VALU_DEP_2) | instskip(SKIP_1) | instid1(VALU_DEP_3)
	v_dual_lshrrev_b32 v24, 9, v24 :: v_dual_bitop2_b32 v25, 0.5, v19 bitop3:0x54
	v_or_b32_e32 v19, 0x33000000, v19
	v_clz_i32_u32_e32 v27, v21
	s_delay_alu instid0(VALU_DEP_3) | instskip(NEXT) | instid1(VALU_DEP_2)
	v_sub_nc_u32_e32 v25, v25, v26
	v_min_u32_e32 v26, 32, v27
	s_delay_alu instid0(VALU_DEP_1) | instskip(NEXT) | instid1(VALU_DEP_1)
	v_add_lshl_u32 v23, v26, v23, 23
	v_dual_sub_nc_u32 v19, v19, v23 :: v_dual_bitop2_b32 v24, v24, v25 bitop3:0x54
	v_not_b32_e32 v25, v26
	s_delay_alu instid0(VALU_DEP_1) | instskip(NEXT) | instid1(VALU_DEP_1)
	v_alignbit_b32 v11, v21, v11, v25
	v_lshrrev_b32_e32 v11, 9, v11
	s_delay_alu instid0(VALU_DEP_4) | instskip(NEXT) | instid1(VALU_DEP_2)
	v_mul_f32_e32 v27, 0x3fc90fda, v24
	v_or_b32_e32 v11, v19, v11
	s_delay_alu instid0(VALU_DEP_2) | instskip(NEXT) | instid1(VALU_DEP_1)
	v_fma_f32 v21, 0x3fc90fda, v24, -v27
	v_fmac_f32_e32 v21, 0x33a22168, v24
	s_delay_alu instid0(VALU_DEP_1) | instskip(NEXT) | instid1(VALU_DEP_1)
	v_fmac_f32_e32 v21, 0x3fc90fda, v11
	v_dual_lshrrev_b32 v7, 30, v7 :: v_dual_add_f32 v19, v27, v21
	s_delay_alu instid0(VALU_DEP_1)
	v_add_nc_u32_e32 v21, v22, v7
.LBB1_11:                               ;   in Loop: Header=BB1_1 Depth=1
	s_or_saveexec_b32 s1, s34
	v_mul_f32_e64 v7, 0x3f22f983, |v9|
	s_delay_alu instid0(VALU_DEP_1)
	v_rndne_f32_e32 v7, v7
	s_xor_b32 exec_lo, exec_lo, s1
; %bb.12:                               ;   in Loop: Header=BB1_1 Depth=1
	s_delay_alu instid0(VALU_DEP_1) | instskip(SKIP_1) | instid1(VALU_DEP_2)
	v_fma_f32 v19, 0xbfc90fda, v7, |v9|
	v_cvt_i32_f32_e32 v21, v7
	v_fmac_f32_e32 v19, 0xb3a22168, v7
	s_delay_alu instid0(VALU_DEP_1)
	v_fmac_f32_e32 v19, 0xa7c234c4, v7
; %bb.13:                               ;   in Loop: Header=BB1_1 Depth=1
	s_or_b32 exec_lo, exec_lo, s1
                                        ; implicit-def: $vgpr24
                                        ; implicit-def: $vgpr22
	s_and_saveexec_b32 s1, s33
	s_delay_alu instid0(SALU_CYCLE_1)
	s_xor_b32 s33, exec_lo, s1
	s_cbranch_execz .LBB1_15
; %bb.14:                               ;   in Loop: Header=BB1_1 Depth=1
	v_mul_u64_e32 v[22:23], s[24:25], v[12:13]
	v_mov_b32_e32 v25, v13
	v_cmp_lt_u32_e32 vcc_lo, 63, v3
	v_mov_b32_e32 v35, v13
	v_cndmask_b32_e64 v7, 0, 0xffffffc0, vcc_lo
	s_delay_alu instid0(VALU_DEP_1) | instskip(NEXT) | instid1(VALU_DEP_1)
	v_add_nc_u32_e32 v3, v7, v3
	v_cmp_lt_u32_e64 s1, 31, v3
	s_delay_alu instid0(VALU_DEP_1) | instskip(NEXT) | instid1(VALU_DEP_1)
	v_cndmask_b32_e64 v7, 0, 0xffffffe0, s1
	v_add_nc_u32_e32 v3, v7, v3
	v_mov_b32_e32 v24, v23
	s_delay_alu instid0(VALU_DEP_2) | instskip(NEXT) | instid1(VALU_DEP_2)
	v_cmp_lt_u32_e64 s4, 31, v3
	v_mad_nc_u64_u32 v[24:25], 0x3c439041, v12, v[24:25]
	v_mov_b32_e32 v27, v13
	s_delay_alu instid0(VALU_DEP_3) | instskip(NEXT) | instid1(VALU_DEP_3)
	v_cndmask_b32_e64 v7, 0, 0xffffffe0, s4
	v_mov_b32_e32 v26, v25
	s_delay_alu instid0(VALU_DEP_1) | instskip(NEXT) | instid1(VALU_DEP_1)
	v_mad_nc_u64_u32 v[26:27], 0xdb629599, v12, v[26:27]
	v_dual_mov_b32 v29, v13 :: v_dual_mov_b32 v28, v27
	s_delay_alu instid0(VALU_DEP_1) | instskip(SKIP_1) | instid1(VALU_DEP_2)
	v_mad_nc_u64_u32 v[28:29], 0xf534ddc0, v12, v[28:29]
	v_dual_mov_b32 v31, v13 :: v_dual_add_nc_u32 v3, v7, v3
	v_dual_cndmask_b32 v7, v28, v24 :: v_dual_mov_b32 v30, v29
	s_delay_alu instid0(VALU_DEP_1) | instskip(NEXT) | instid1(VALU_DEP_1)
	v_mad_nc_u64_u32 v[30:31], 0xfc2757d1, v12, v[30:31]
	v_dual_mov_b32 v33, v13 :: v_dual_mov_b32 v32, v31
	s_delay_alu instid0(VALU_DEP_2) | instskip(NEXT) | instid1(VALU_DEP_2)
	v_cndmask_b32_e32 v25, v30, v26, vcc_lo
	v_mad_nc_u64_u32 v[32:33], 0x4e441529, v12, v[32:33]
	s_delay_alu instid0(VALU_DEP_1) | instskip(NEXT) | instid1(VALU_DEP_1)
	v_mov_b32_e32 v34, v33
	v_mad_nc_u64_u32 v[34:35], 0xa2f9836e, v12, v[34:35]
	s_delay_alu instid0(VALU_DEP_1) | instskip(NEXT) | instid1(VALU_DEP_1)
	v_dual_cndmask_b32 v11, v32, v28 :: v_dual_cndmask_b32 v12, v34, v30
	v_dual_cndmask_b32 v23, v35, v32, vcc_lo :: v_dual_cndmask_b32 v24, v12, v11, s1
	s_delay_alu instid0(VALU_DEP_1) | instskip(SKIP_1) | instid1(VALU_DEP_2)
	v_cndmask_b32_e64 v12, v23, v12, s1
	v_dual_cndmask_b32 v11, v11, v25, s1 :: v_dual_sub_nc_u32 v23, 32, v3
	v_dual_cndmask_b32 v25, v25, v7, s1 :: v_dual_cndmask_b32 v12, v12, v24, s4
	s_delay_alu instid0(VALU_DEP_1) | instskip(NEXT) | instid1(VALU_DEP_1)
	v_dual_cndmask_b32 v24, v24, v11, s4 :: v_dual_cndmask_b32 v11, v11, v25, s4
	v_alignbit_b32 v27, v12, v24, v23
	v_cndmask_b32_e32 v22, v26, v22, vcc_lo
	v_cmp_eq_u32_e32 vcc_lo, 0, v3
	s_delay_alu instid0(VALU_DEP_4) | instskip(NEXT) | instid1(VALU_DEP_4)
	v_alignbit_b32 v26, v24, v11, v23
	v_cndmask_b32_e32 v3, v27, v12, vcc_lo
	s_delay_alu instid0(VALU_DEP_2) | instskip(NEXT) | instid1(VALU_DEP_2)
	v_dual_cndmask_b32 v7, v7, v22, s1 :: v_dual_cndmask_b32 v12, v26, v24, vcc_lo
	v_bfe_u32 v24, v3, 29, 1
	s_delay_alu instid0(VALU_DEP_2) | instskip(NEXT) | instid1(VALU_DEP_3)
	v_cndmask_b32_e64 v7, v25, v7, s4
	v_alignbit_b32 v22, v3, v12, 30
	s_delay_alu instid0(VALU_DEP_3) | instskip(NEXT) | instid1(VALU_DEP_3)
	v_sub_nc_u32_e32 v25, 0, v24
	v_alignbit_b32 v23, v11, v7, v23
	s_delay_alu instid0(VALU_DEP_1) | instskip(NEXT) | instid1(VALU_DEP_1)
	v_dual_cndmask_b32 v11, v23, v11, vcc_lo :: v_dual_bitop2_b32 v22, v22, v25 bitop3:0x14
	v_clz_i32_u32_e32 v23, v22
	s_delay_alu instid0(VALU_DEP_2) | instskip(SKIP_1) | instid1(VALU_DEP_3)
	v_alignbit_b32 v12, v12, v11, 30
	v_alignbit_b32 v7, v11, v7, 30
	v_min_u32_e32 v23, 32, v23
	s_delay_alu instid0(VALU_DEP_3) | instskip(NEXT) | instid1(VALU_DEP_3)
	v_xor_b32_e32 v11, v12, v25
	v_dual_lshrrev_b32 v25, 29, v3 :: v_dual_bitop2_b32 v7, v7, v25 bitop3:0x14
	v_lshrrev_b32_e32 v3, 30, v3
	s_delay_alu instid0(VALU_DEP_4) | instskip(NEXT) | instid1(VALU_DEP_2)
	v_dual_sub_nc_u32 v12, 31, v23 :: v_dual_lshlrev_b32 v26, 23, v23
	v_add_nc_u32_e32 v24, v24, v3
	s_delay_alu instid0(VALU_DEP_2) | instskip(SKIP_2) | instid1(VALU_DEP_2)
	v_alignbit_b32 v22, v22, v11, v12
	v_alignbit_b32 v7, v11, v7, v12
	v_lshlrev_b32_e32 v11, 31, v25
	v_alignbit_b32 v12, v22, v7, 9
	s_delay_alu instid0(VALU_DEP_2) | instskip(SKIP_1) | instid1(VALU_DEP_3)
	v_dual_lshrrev_b32 v22, 9, v22 :: v_dual_bitop2_b32 v25, 0.5, v11 bitop3:0x54
	v_or_b32_e32 v11, 0x33000000, v11
	v_clz_i32_u32_e32 v27, v12
	s_delay_alu instid0(VALU_DEP_3) | instskip(NEXT) | instid1(VALU_DEP_2)
	v_sub_nc_u32_e32 v25, v25, v26
	v_min_u32_e32 v26, 32, v27
	s_delay_alu instid0(VALU_DEP_1) | instskip(NEXT) | instid1(VALU_DEP_1)
	v_add_lshl_u32 v23, v26, v23, 23
	v_dual_sub_nc_u32 v11, v11, v23 :: v_dual_bitop2_b32 v22, v22, v25 bitop3:0x54
	v_not_b32_e32 v25, v26
	s_delay_alu instid0(VALU_DEP_1) | instskip(NEXT) | instid1(VALU_DEP_1)
	v_alignbit_b32 v7, v12, v7, v25
	v_lshrrev_b32_e32 v7, 9, v7
	s_delay_alu instid0(VALU_DEP_1) | instskip(SKIP_1) | instid1(VALU_DEP_1)
	v_or_b32_e32 v7, v11, v7
	v_mul_f32_e32 v27, 0x3fc90fda, v22
	v_fma_f32 v12, 0x3fc90fda, v22, -v27
	s_delay_alu instid0(VALU_DEP_1) | instskip(NEXT) | instid1(VALU_DEP_1)
	v_fmac_f32_e32 v12, 0x33a22168, v22
	v_fmac_f32_e32 v12, 0x3fc90fda, v7
                                        ; implicit-def: $vgpr7
	s_delay_alu instid0(VALU_DEP_1)
	v_add_f32_e32 v22, v27, v12
	s_and_not1_saveexec_b32 s1, s33
	s_cbranch_execnz .LBB1_16
	s_branch .LBB1_17
.LBB1_15:                               ;   in Loop: Header=BB1_1 Depth=1
	s_and_not1_saveexec_b32 s1, s33
.LBB1_16:                               ;   in Loop: Header=BB1_1 Depth=1
	v_fma_f32 v22, 0xbfc90fda, v7, |v9|
	v_cvt_i32_f32_e32 v24, v7
	s_delay_alu instid0(VALU_DEP_2) | instskip(NEXT) | instid1(VALU_DEP_1)
	v_fmac_f32_e32 v22, 0xb3a22168, v7
	v_fmac_f32_e32 v22, 0xa7c234c4, v7
.LBB1_17:                               ;   in Loop: Header=BB1_1 Depth=1
	s_or_b32 exec_lo, exec_lo, s1
	v_lshl_add_u64 v[26:27], v[0:1], 2, s[16:17]
	global_load_b32 v23, v[26:27], off
                                        ; implicit-def: $vgpr27
                                        ; implicit-def: $vgpr26
	s_wait_loadcnt 0x0
	v_and_b32_e32 v25, 0x7fffffff, v23
	v_cmp_ngt_f32_e64 s33, 0x48000000, |v23|
	s_delay_alu instid0(VALU_DEP_2) | instskip(SKIP_1) | instid1(VALU_DEP_2)
	v_lshrrev_b32_e32 v3, 23, v25
	v_and_or_b32 v12, v25, s27, 0x800000
	v_add_nc_u32_e32 v3, 0xffffff88, v3
	s_wait_xcnt 0x0
	s_and_saveexec_b32 s1, s33
	s_delay_alu instid0(SALU_CYCLE_1)
	s_xor_b32 s34, exec_lo, s1
	s_cbranch_execz .LBB1_19
; %bb.18:                               ;   in Loop: Header=BB1_1 Depth=1
	v_mul_u64_e32 v[26:27], s[24:25], v[12:13]
	v_mov_b32_e32 v29, v13
	v_cmp_lt_u32_e32 vcc_lo, 63, v3
	v_mov_b32_e32 v41, v13
	v_cndmask_b32_e64 v7, 0, 0xffffffc0, vcc_lo
	s_delay_alu instid0(VALU_DEP_1) | instskip(NEXT) | instid1(VALU_DEP_1)
	v_add_nc_u32_e32 v7, v7, v3
	v_cmp_lt_u32_e64 s1, 31, v7
	s_delay_alu instid0(VALU_DEP_1) | instskip(NEXT) | instid1(VALU_DEP_1)
	v_cndmask_b32_e64 v11, 0, 0xffffffe0, s1
	v_add_nc_u32_e32 v7, v11, v7
	v_mov_b32_e32 v28, v27
	s_delay_alu instid0(VALU_DEP_2) | instskip(NEXT) | instid1(VALU_DEP_2)
	v_cmp_lt_u32_e64 s4, 31, v7
	v_mad_nc_u64_u32 v[28:29], 0x3c439041, v12, v[28:29]
	v_mov_b32_e32 v31, v13
	s_delay_alu instid0(VALU_DEP_3) | instskip(NEXT) | instid1(VALU_DEP_3)
	v_cndmask_b32_e64 v11, 0, 0xffffffe0, s4
	v_mov_b32_e32 v30, v29
	s_delay_alu instid0(VALU_DEP_1) | instskip(NEXT) | instid1(VALU_DEP_1)
	v_mad_nc_u64_u32 v[30:31], 0xdb629599, v12, v[30:31]
	v_dual_mov_b32 v33, v13 :: v_dual_mov_b32 v32, v31
	s_delay_alu instid0(VALU_DEP_2) | instskip(NEXT) | instid1(VALU_DEP_2)
	v_cndmask_b32_e32 v26, v30, v26, vcc_lo
	v_mad_nc_u64_u32 v[32:33], 0xf534ddc0, v12, v[32:33]
	v_dual_mov_b32 v35, v13 :: v_dual_add_nc_u32 v7, v11, v7
	s_delay_alu instid0(VALU_DEP_2) | instskip(NEXT) | instid1(VALU_DEP_1)
	v_dual_cndmask_b32 v11, v32, v28 :: v_dual_mov_b32 v34, v33
	v_mad_nc_u64_u32 v[34:35], 0xfc2757d1, v12, v[34:35]
	s_delay_alu instid0(VALU_DEP_1) | instskip(NEXT) | instid1(VALU_DEP_2)
	v_dual_mov_b32 v37, v13 :: v_dual_mov_b32 v36, v35
	v_cndmask_b32_e32 v33, v34, v30, vcc_lo
	s_delay_alu instid0(VALU_DEP_2) | instskip(NEXT) | instid1(VALU_DEP_1)
	v_mad_nc_u64_u32 v[36:37], 0x4e441529, v12, v[36:37]
	v_dual_mov_b32 v40, v37 :: v_dual_cndmask_b32 v27, v36, v32
	s_delay_alu instid0(VALU_DEP_3) | instskip(NEXT) | instid1(VALU_DEP_2)
	v_cndmask_b32_e64 v32, v33, v11, s1
	v_mad_nc_u64_u32 v[40:41], 0xa2f9836e, v12, v[40:41]
	s_delay_alu instid0(VALU_DEP_1) | instskip(SKIP_1) | instid1(VALU_DEP_2)
	v_dual_cndmask_b32 v29, v40, v34, vcc_lo :: v_dual_cndmask_b32 v31, v41, v36, vcc_lo
	v_cmp_eq_u32_e32 vcc_lo, 0, v7
	v_dual_cndmask_b32 v28, v29, v27, s1 :: v_dual_cndmask_b32 v29, v31, v29, s1
	v_dual_cndmask_b32 v27, v27, v33, s1 :: v_dual_sub_nc_u32 v31, 32, v7
	s_delay_alu instid0(VALU_DEP_1) | instskip(NEXT) | instid1(VALU_DEP_1)
	v_dual_cndmask_b32 v29, v29, v28, s4 :: v_dual_cndmask_b32 v28, v28, v27, s4
	v_alignbit_b32 v33, v29, v28, v31
	s_delay_alu instid0(VALU_DEP_1) | instskip(NEXT) | instid1(VALU_DEP_1)
	v_dual_cndmask_b32 v27, v27, v32, s4 :: v_dual_cndmask_b32 v7, v33, v29, vcc_lo
	v_alignbit_b32 v30, v28, v27, v31
	s_delay_alu instid0(VALU_DEP_1) | instskip(NEXT) | instid1(VALU_DEP_3)
	v_dual_cndmask_b32 v11, v11, v26, s1 :: v_dual_cndmask_b32 v26, v30, v28, vcc_lo
	v_bfe_u32 v28, v7, 29, 1
	s_delay_alu instid0(VALU_DEP_2) | instskip(NEXT) | instid1(VALU_DEP_3)
	v_cndmask_b32_e64 v11, v32, v11, s4
	v_alignbit_b32 v29, v7, v26, 30
	s_delay_alu instid0(VALU_DEP_3) | instskip(NEXT) | instid1(VALU_DEP_3)
	v_sub_nc_u32_e32 v30, 0, v28
	v_alignbit_b32 v31, v27, v11, v31
	s_delay_alu instid0(VALU_DEP_1) | instskip(NEXT) | instid1(VALU_DEP_1)
	v_dual_cndmask_b32 v27, v31, v27, vcc_lo :: v_dual_bitop2_b32 v29, v29, v30 bitop3:0x14
	v_clz_i32_u32_e32 v31, v29
	s_delay_alu instid0(VALU_DEP_2) | instskip(SKIP_1) | instid1(VALU_DEP_3)
	v_alignbit_b32 v26, v26, v27, 30
	v_alignbit_b32 v11, v27, v11, 30
	v_min_u32_e32 v31, 32, v31
	s_delay_alu instid0(VALU_DEP_3) | instskip(NEXT) | instid1(VALU_DEP_3)
	v_xor_b32_e32 v26, v26, v30
	v_dual_lshrrev_b32 v30, 29, v7 :: v_dual_bitop2_b32 v11, v11, v30 bitop3:0x14
	v_lshrrev_b32_e32 v7, 30, v7
	s_delay_alu instid0(VALU_DEP_4) | instskip(NEXT) | instid1(VALU_DEP_1)
	v_dual_sub_nc_u32 v27, 31, v31 :: v_dual_lshlrev_b32 v32, 23, v31
	v_alignbit_b32 v29, v29, v26, v27
	s_delay_alu instid0(VALU_DEP_4) | instskip(SKIP_1) | instid1(VALU_DEP_2)
	v_alignbit_b32 v11, v26, v11, v27
	v_lshlrev_b32_e32 v26, 31, v30
	v_alignbit_b32 v27, v29, v11, 9
	s_delay_alu instid0(VALU_DEP_2) | instskip(SKIP_1) | instid1(VALU_DEP_3)
	v_dual_lshrrev_b32 v29, 9, v29 :: v_dual_bitop2_b32 v30, 0.5, v26 bitop3:0x54
	v_or_b32_e32 v26, 0x33000000, v26
	v_clz_i32_u32_e32 v33, v27
	s_delay_alu instid0(VALU_DEP_3) | instskip(NEXT) | instid1(VALU_DEP_2)
	v_sub_nc_u32_e32 v30, v30, v32
	v_min_u32_e32 v32, 32, v33
	s_delay_alu instid0(VALU_DEP_1) | instskip(NEXT) | instid1(VALU_DEP_3)
	v_add_lshl_u32 v31, v32, v31, 23
	v_or_b32_e32 v29, v29, v30
	v_not_b32_e32 v30, v32
	s_delay_alu instid0(VALU_DEP_2) | instskip(NEXT) | instid1(VALU_DEP_2)
	v_dual_mul_f32 v33, 0x3fc90fda, v29 :: v_dual_sub_nc_u32 v26, v26, v31
	v_alignbit_b32 v11, v27, v11, v30
	s_delay_alu instid0(VALU_DEP_2) | instskip(NEXT) | instid1(VALU_DEP_2)
	v_fma_f32 v27, 0x3fc90fda, v29, -v33
	v_lshrrev_b32_e32 v11, 9, v11
	s_delay_alu instid0(VALU_DEP_2) | instskip(NEXT) | instid1(VALU_DEP_2)
	v_fmac_f32_e32 v27, 0x33a22168, v29
	v_or_b32_e32 v11, v26, v11
	s_delay_alu instid0(VALU_DEP_1) | instskip(NEXT) | instid1(VALU_DEP_1)
	v_fmac_f32_e32 v27, 0x3fc90fda, v11
	v_add_f32_e32 v26, v33, v27
	v_add_nc_u32_e32 v27, v28, v7
.LBB1_19:                               ;   in Loop: Header=BB1_1 Depth=1
	s_or_saveexec_b32 s1, s34
	v_mul_f32_e64 v7, 0x3f22f983, |v23|
	s_delay_alu instid0(VALU_DEP_1)
	v_rndne_f32_e32 v7, v7
	s_xor_b32 exec_lo, exec_lo, s1
; %bb.20:                               ;   in Loop: Header=BB1_1 Depth=1
	s_delay_alu instid0(VALU_DEP_1) | instskip(SKIP_1) | instid1(VALU_DEP_2)
	v_fma_f32 v26, 0xbfc90fda, v7, |v23|
	v_cvt_i32_f32_e32 v27, v7
	v_fmac_f32_e32 v26, 0xb3a22168, v7
	s_delay_alu instid0(VALU_DEP_1)
	v_fmac_f32_e32 v26, 0xa7c234c4, v7
; %bb.21:                               ;   in Loop: Header=BB1_1 Depth=1
	s_or_b32 exec_lo, exec_lo, s1
                                        ; implicit-def: $vgpr29
                                        ; implicit-def: $vgpr28
	s_and_saveexec_b32 s1, s33
	s_delay_alu instid0(SALU_CYCLE_1)
	s_xor_b32 s33, exec_lo, s1
	s_cbranch_execz .LBB1_23
; %bb.22:                               ;   in Loop: Header=BB1_1 Depth=1
	v_mul_u64_e32 v[28:29], s[24:25], v[12:13]
	v_mov_b32_e32 v31, v13
	v_cmp_lt_u32_e32 vcc_lo, 63, v3
	v_mov_b32_e32 v43, v13
	v_cndmask_b32_e64 v7, 0, 0xffffffc0, vcc_lo
	s_delay_alu instid0(VALU_DEP_1) | instskip(NEXT) | instid1(VALU_DEP_1)
	v_add_nc_u32_e32 v3, v7, v3
	v_cmp_lt_u32_e64 s1, 31, v3
	s_delay_alu instid0(VALU_DEP_1) | instskip(NEXT) | instid1(VALU_DEP_1)
	v_cndmask_b32_e64 v7, 0, 0xffffffe0, s1
	v_dual_mov_b32 v30, v29 :: v_dual_add_nc_u32 v3, v7, v3
	s_delay_alu instid0(VALU_DEP_1) | instskip(NEXT) | instid1(VALU_DEP_2)
	v_cmp_lt_u32_e64 s4, 31, v3
	v_mad_nc_u64_u32 v[30:31], 0x3c439041, v12, v[30:31]
	v_mov_b32_e32 v33, v13
	s_delay_alu instid0(VALU_DEP_3) | instskip(NEXT) | instid1(VALU_DEP_1)
	v_cndmask_b32_e64 v7, 0, 0xffffffe0, s4
	v_add_nc_u32_e32 v3, v7, v3
	s_delay_alu instid0(VALU_DEP_4) | instskip(NEXT) | instid1(VALU_DEP_1)
	v_mov_b32_e32 v32, v31
	v_mad_nc_u64_u32 v[32:33], 0xdb629599, v12, v[32:33]
	s_delay_alu instid0(VALU_DEP_1) | instskip(NEXT) | instid1(VALU_DEP_2)
	v_dual_mov_b32 v35, v13 :: v_dual_mov_b32 v34, v33
	v_cndmask_b32_e32 v28, v32, v28, vcc_lo
	s_delay_alu instid0(VALU_DEP_2) | instskip(NEXT) | instid1(VALU_DEP_1)
	v_mad_nc_u64_u32 v[34:35], 0xf534ddc0, v12, v[34:35]
	v_dual_mov_b32 v37, v13 :: v_dual_mov_b32 v36, v35
	s_delay_alu instid0(VALU_DEP_2) | instskip(NEXT) | instid1(VALU_DEP_2)
	v_cndmask_b32_e32 v7, v34, v30, vcc_lo
	v_mad_nc_u64_u32 v[36:37], 0xfc2757d1, v12, v[36:37]
	s_delay_alu instid0(VALU_DEP_1) | instskip(NEXT) | instid1(VALU_DEP_2)
	v_dual_mov_b32 v41, v13 :: v_dual_mov_b32 v40, v37
	v_cndmask_b32_e32 v31, v36, v32, vcc_lo
	s_delay_alu instid0(VALU_DEP_2) | instskip(NEXT) | instid1(VALU_DEP_1)
	v_mad_nc_u64_u32 v[40:41], 0x4e441529, v12, v[40:41]
	v_mov_b32_e32 v42, v41
	s_delay_alu instid0(VALU_DEP_1) | instskip(NEXT) | instid1(VALU_DEP_1)
	v_mad_nc_u64_u32 v[42:43], 0xa2f9836e, v12, v[42:43]
	v_dual_cndmask_b32 v11, v40, v34 :: v_dual_cndmask_b32 v12, v42, v36
	s_delay_alu instid0(VALU_DEP_2) | instskip(SKIP_1) | instid1(VALU_DEP_2)
	v_cndmask_b32_e32 v29, v43, v40, vcc_lo
	v_cmp_eq_u32_e32 vcc_lo, 0, v3
	v_dual_cndmask_b32 v30, v12, v11, s1 :: v_dual_cndmask_b32 v12, v29, v12, s1
	v_cndmask_b32_e64 v11, v11, v31, s1
	s_delay_alu instid0(VALU_DEP_2) | instskip(NEXT) | instid1(VALU_DEP_2)
	v_dual_sub_nc_u32 v29, 32, v3 :: v_dual_cndmask_b32 v12, v12, v30, s4
	v_cndmask_b32_e64 v30, v30, v11, s4
	s_delay_alu instid0(VALU_DEP_1) | instskip(SKIP_2) | instid1(VALU_DEP_2)
	v_alignbit_b32 v33, v12, v30, v29
	v_cndmask_b32_e64 v31, v31, v7, s1
	v_cndmask_b32_e64 v7, v7, v28, s1
	v_dual_cndmask_b32 v3, v33, v12, vcc_lo :: v_dual_cndmask_b32 v11, v11, v31, s4
	s_delay_alu instid0(VALU_DEP_1) | instskip(NEXT) | instid1(VALU_DEP_1)
	v_alignbit_b32 v32, v30, v11, v29
	v_cndmask_b32_e32 v12, v32, v30, vcc_lo
	s_delay_alu instid0(VALU_DEP_3) | instskip(SKIP_1) | instid1(VALU_DEP_3)
	v_bfe_u32 v30, v3, 29, 1
	v_cndmask_b32_e64 v7, v31, v7, s4
	v_alignbit_b32 v28, v3, v12, 30
	s_delay_alu instid0(VALU_DEP_3) | instskip(NEXT) | instid1(VALU_DEP_3)
	v_sub_nc_u32_e32 v31, 0, v30
	v_alignbit_b32 v29, v11, v7, v29
	s_delay_alu instid0(VALU_DEP_2) | instskip(NEXT) | instid1(VALU_DEP_2)
	v_xor_b32_e32 v28, v28, v31
	v_cndmask_b32_e32 v11, v29, v11, vcc_lo
	s_delay_alu instid0(VALU_DEP_2) | instskip(NEXT) | instid1(VALU_DEP_1)
	v_clz_i32_u32_e32 v29, v28
	v_min_u32_e32 v29, 32, v29
	s_delay_alu instid0(VALU_DEP_1) | instskip(NEXT) | instid1(VALU_DEP_4)
	v_lshlrev_b32_e32 v32, 23, v29
	v_alignbit_b32 v12, v12, v11, 30
	v_alignbit_b32 v7, v11, v7, 30
	s_delay_alu instid0(VALU_DEP_2) | instskip(NEXT) | instid1(VALU_DEP_2)
	v_dual_sub_nc_u32 v12, 31, v29 :: v_dual_bitop2_b32 v11, v12, v31 bitop3:0x14
	v_xor_b32_e32 v7, v7, v31
	s_delay_alu instid0(VALU_DEP_2) | instskip(SKIP_1) | instid1(VALU_DEP_3)
	v_alignbit_b32 v28, v28, v11, v12
	v_lshrrev_b32_e32 v31, 29, v3
	v_alignbit_b32 v7, v11, v7, v12
	v_lshrrev_b32_e32 v3, 30, v3
	s_delay_alu instid0(VALU_DEP_2) | instskip(NEXT) | instid1(VALU_DEP_4)
	v_alignbit_b32 v12, v28, v7, 9
	v_dual_lshrrev_b32 v28, 9, v28 :: v_dual_lshlrev_b32 v11, 31, v31
	s_delay_alu instid0(VALU_DEP_2) | instskip(NEXT) | instid1(VALU_DEP_2)
	v_clz_i32_u32_e32 v33, v12
	v_or_b32_e32 v31, 0.5, v11
	v_or_b32_e32 v11, 0x33000000, v11
	s_delay_alu instid0(VALU_DEP_2) | instskip(NEXT) | instid1(VALU_DEP_4)
	v_sub_nc_u32_e32 v31, v31, v32
	v_min_u32_e32 v32, 32, v33
	s_delay_alu instid0(VALU_DEP_2) | instskip(NEXT) | instid1(VALU_DEP_2)
	v_or_b32_e32 v28, v28, v31
	v_not_b32_e32 v31, v32
	v_add_lshl_u32 v29, v32, v29, 23
	s_delay_alu instid0(VALU_DEP_2) | instskip(NEXT) | instid1(VALU_DEP_2)
	v_alignbit_b32 v7, v12, v7, v31
	v_dual_sub_nc_u32 v11, v11, v29 :: v_dual_add_nc_u32 v29, v30, v3
	s_delay_alu instid0(VALU_DEP_2) | instskip(NEXT) | instid1(VALU_DEP_1)
	v_lshrrev_b32_e32 v7, 9, v7
	v_or_b32_e32 v7, v11, v7
	v_mul_f32_e32 v33, 0x3fc90fda, v28
	s_delay_alu instid0(VALU_DEP_1) | instskip(NEXT) | instid1(VALU_DEP_1)
	v_fma_f32 v12, 0x3fc90fda, v28, -v33
	v_fmac_f32_e32 v12, 0x33a22168, v28
	s_delay_alu instid0(VALU_DEP_1) | instskip(NEXT) | instid1(VALU_DEP_1)
	v_fmac_f32_e32 v12, 0x3fc90fda, v7
                                        ; implicit-def: $vgpr7
	v_add_f32_e32 v28, v33, v12
	s_and_not1_saveexec_b32 s1, s33
	s_cbranch_execnz .LBB1_24
	s_branch .LBB1_25
.LBB1_23:                               ;   in Loop: Header=BB1_1 Depth=1
	s_and_not1_saveexec_b32 s1, s33
.LBB1_24:                               ;   in Loop: Header=BB1_1 Depth=1
	v_fma_f32 v28, 0xbfc90fda, v7, |v23|
	v_cvt_i32_f32_e32 v29, v7
	s_delay_alu instid0(VALU_DEP_2) | instskip(NEXT) | instid1(VALU_DEP_1)
	v_fmac_f32_e32 v28, 0xb3a22168, v7
	v_fmac_f32_e32 v28, 0xa7c234c4, v7
.LBB1_25:                               ;   in Loop: Header=BB1_1 Depth=1
	s_or_b32 exec_lo, exec_lo, s1
	v_lshlrev_b64_e32 v[0:1], 2, v[0:1]
	v_dual_mul_f32 v35, v5, v5 :: v_dual_bitop2_b32 v36, 1, v6 bitop3:0x40
	s_delay_alu instid0(VALU_DEP_3) | instskip(SKIP_1) | instid1(VALU_DEP_3)
	v_dual_mul_f32 v37, v28, v28 :: v_dual_lshlrev_b32 v6, 30, v6
	v_xor_b32_e32 v18, v18, v9
	v_fmaak_f32 v48, s28, v35, 0x3c0881c4
	v_add_nc_u64_e32 v[30:31], s[18:19], v[0:1]
	v_add_nc_u64_e32 v[32:33], s[20:21], v[0:1]
	;; [unrolled: 1-line block ×3, first 2 shown]
	v_fmaak_f32 v50, s28, v37, 0x3c0881c4
	v_fmaak_f32 v48, v35, v48, 0xbe2aaa9d
	v_dual_lshlrev_b32 v12, 30, v27 :: v_dual_bitop2_b32 v34, 1, v10 bitop3:0x40
	v_lshlrev_b32_e32 v10, 30, v10
	global_load_b32 v11, v[30:31], off
	global_load_b32 v7, v[32:33], off
	;; [unrolled: 1-line block ×3, first 2 shown]
	v_fmaak_f32 v50, v37, v50, 0xbe2aaa9d
	v_fmaak_f32 v49, s29, v35, 0xbab64f3b
	s_wait_xcnt 0x2
	v_dual_mul_f32 v31, v19, v19 :: v_dual_bitop2_b32 v30, 1, v24 bitop3:0x40
	s_wait_xcnt 0x1
	v_dual_mul_f32 v33, v8, v8 :: v_dual_mul_f32 v50, v37, v50
	v_dual_fmaak_f32 v49, v35, v49, 0x3d2aabf7 :: v_dual_mul_f32 v48, v35, v48
	s_delay_alu instid0(VALU_DEP_3) | instskip(NEXT) | instid1(VALU_DEP_3)
	v_fmaak_f32 v44, s28, v31, 0x3c0881c4
	v_fmaak_f32 v46, s28, v33, 0x3c0881c4
	;; [unrolled: 1-line block ×3, first 2 shown]
	s_wait_xcnt 0x0
	v_dual_fmaak_f32 v49, v35, v49, 0xbf000004 :: v_dual_mul_f32 v0, v26, v26
	v_dual_mul_f32 v27, v22, v22 :: v_dual_bitop2_b32 v1, 1, v27 bitop3:0x40
	v_fmac_f32_e32 v5, v5, v48
	v_fmaak_f32 v44, v31, v44, 0xbe2aaa9d
	s_delay_alu instid0(VALU_DEP_4) | instskip(SKIP_2) | instid1(VALU_DEP_4)
	v_fma_f32 v35, v35, v49, 1.0
	v_fmaak_f32 v46, v33, v46, 0xbe2aaa9d
	v_fmaak_f32 v45, s29, v31, 0xbab64f3b
	v_dual_fmaak_f32 v43, s29, v27, 0xbab64f3b :: v_dual_mul_f32 v44, v31, v44
	v_fmaak_f32 v42, s28, v27, 0x3c0881c4
	s_delay_alu instid0(VALU_DEP_3)
	v_dual_mul_f32 v46, v33, v46 :: v_dual_fmaak_f32 v45, v31, v45, 0x3d2aabf7
	v_fmac_f32_e32 v28, v28, v50
	v_fmaak_f32 v40, s28, v0, 0x3c0881c4
	v_fmac_f32_e32 v19, v19, v44
	v_fmaak_f32 v42, v27, v42, 0xbe2aaa9d
	v_fmaak_f32 v41, s29, v0, 0xbab64f3b
	;; [unrolled: 1-line block ×3, first 2 shown]
	v_dual_fmaak_f32 v43, v27, v43, 0x3d2aabf7 :: v_dual_fmac_f32 v8, v8, v46
	s_delay_alu instid0(VALU_DEP_3) | instskip(NEXT) | instid1(VALU_DEP_3)
	v_dual_mul_f32 v42, v27, v42 :: v_dual_fmaak_f32 v41, v0, v41, 0x3d2aabf7
	v_fma_f32 v31, v31, v45, 1.0
	v_fmaak_f32 v40, v0, v40, 0xbe2aaa9d
	s_delay_alu instid0(VALU_DEP_3) | instskip(NEXT) | instid1(VALU_DEP_4)
	v_dual_fmac_f32 v22, v22, v42 :: v_dual_bitop2_b32 v39, 1, v29 bitop3:0x40
	v_fmaak_f32 v41, v0, v41, 0xbf000004
	s_delay_alu instid0(VALU_DEP_3) | instskip(SKIP_2) | instid1(VALU_DEP_4)
	v_dual_fmaak_f32 v43, v27, v43, 0xbf000004 :: v_dual_mul_f32 v40, v0, v40
	v_fmaak_f32 v51, s29, v37, 0xbab64f3b
	v_cmp_eq_u32_e32 vcc_lo, 0, v1
	v_fma_f32 v0, v0, v41, 1.0
	v_dual_lshlrev_b32 v21, 30, v21 :: v_dual_bitop2_b32 v32, 1, v21 bitop3:0x40
	v_dual_fmac_f32 v26, v26, v40 :: v_dual_fmaak_f32 v47, v33, v47, 0x3d2aabf7
	v_fma_f32 v27, v27, v43, 1.0
	v_dual_lshlrev_b32 v24, 30, v24 :: v_dual_bitop2_b32 v25, v25, v23 bitop3:0x14
	s_delay_alu instid0(VALU_DEP_3)
	v_dual_cndmask_b32 v0, v0, v26 :: v_dual_fmaak_f32 v47, v33, v47, 0xbf000004
	v_cmp_eq_u32_e32 vcc_lo, 0, v30
	v_and_b32_e32 v12, 0x80000000, v12
	v_and_b32_e32 v21, 0x80000000, v21
	v_cmp_class_f32_e64 s1, v2, 0x1f8
	v_fma_f32 v33, v33, v47, 1.0
	v_cndmask_b32_e64 v1, -v22, v27, vcc_lo
	v_cmp_eq_u32_e32 vcc_lo, 0, v32
	v_xor3_b32 v0, v25, v12, v0
	v_dual_lshlrev_b32 v29, 30, v29 :: v_dual_bitop2_b32 v4, v4, v2 bitop3:0x14
	v_and_b32_e32 v6, 0x80000000, v6
	v_cndmask_b32_e32 v19, v31, v19, vcc_lo
	v_cmp_eq_u32_e32 vcc_lo, 0, v34
	v_cmp_class_f32_e64 s4, v9, 0x1f8
	s_xor_b32 s33, s30, -1
	s_cmp_lg_u32 s31, 1
	v_xor3_b32 v12, v18, v21, v19
	v_cndmask_b32_e64 v8, -v8, v33, vcc_lo
	v_cmp_eq_u32_e32 vcc_lo, 0, v36
	v_bitop3_b32 v1, v24, v1, 0x80000000 bitop3:0x6c
	s_cselect_b32 s7, s7, 0
	s_cmp_lg_u32 s31, 0
	v_bitop3_b32 v8, v10, v8, 0x80000000 bitop3:0x6c
	v_cndmask_b32_e32 v5, v35, v5, vcc_lo
	v_cmp_eq_u32_e32 vcc_lo, 0, v39
	s_mov_b32 s30, 0
	s_cselect_b32 s6, s6, 0
	v_cndmask_b32_e64 v19, 0x7fc00000, v8, s1
	v_fmaak_f32 v51, v37, v51, 0x3d2aabf7
	v_xor3_b32 v4, v4, v6, v5
	v_cndmask_b32_e64 v6, 0x7fc00000, v1, s4
	s_delay_alu instid0(VALU_DEP_3) | instskip(NEXT) | instid1(VALU_DEP_3)
	v_fmaak_f32 v51, v37, v51, 0xbf000004
	v_cndmask_b32_e64 v18, 0x7fc00000, v4, s1
	s_delay_alu instid0(VALU_DEP_2) | instskip(NEXT) | instid1(VALU_DEP_1)
	v_fma_f32 v37, v37, v51, 1.0
	v_cndmask_b32_e64 v22, -v28, v37, vcc_lo
	v_cmp_class_f32_e64 vcc_lo, v23, 0x1f8
	s_delay_alu instid0(VALU_DEP_4) | instskip(NEXT) | instid1(VALU_DEP_3)
	v_mov_b32_e32 v23, v18
	v_bitop3_b32 v10, v29, v22, 0x80000000 bitop3:0x6c
	v_cndmask_b32_e32 v2, 0x7fc00000, v0, vcc_lo
	v_cndmask_b32_e64 v0, 0x7fc00000, v12, s4
	v_mov_b32_e32 v22, v19
	s_delay_alu instid0(VALU_DEP_4) | instskip(NEXT) | instid1(VALU_DEP_4)
	v_cndmask_b32_e32 v10, 0x7fc00000, v10, vcc_lo
	v_mul_f32_e32 v4, v6, v2
	s_delay_alu instid0(VALU_DEP_4)
	v_pk_mul_f32 v[24:25], v[18:19], v[0:1] op_sel_hi:[1,0]
	v_xor_b32_e32 v0, 0x80000000, v0
	s_and_not1_b32 vcc_lo, exec_lo, s33
	v_mul_f32_e32 v8, v6, v10
	s_wait_loadcnt 0x2
	v_pk_mul_f32 v[22:23], v[22:23], v[10:11] op_sel_hi:[1,0]
	v_pk_mul_f32 v[28:29], v[24:25], v[10:11] op_sel_hi:[1,0]
	s_wait_loadcnt 0x0
	v_pk_mul_f32 v[26:27], v[18:19], v[2:3] op_sel_hi:[1,0]
	v_pk_mul_f32 v[32:33], v[24:25], v[2:3] op_sel_hi:[1,0]
	;; [unrolled: 1-line block ×3, first 2 shown]
	s_delay_alu instid0(VALU_DEP_3) | instskip(SKIP_2) | instid1(VALU_DEP_4)
	v_pk_fma_f32 v[30:31], v[24:25], v[10:11], v[26:27] op_sel:[0,0,1] op_sel_hi:[1,0,0]
	v_pk_fma_f32 v[24:25], v[24:25], v[2:3], v[22:23] op_sel_hi:[1,0,1] neg_lo:[0,0,1] neg_hi:[0,0,1]
	v_sub_f32_e32 v9, v28, v27
	v_dual_add_f32 v5, v32, v22 :: v_dual_mov_b32 v1, v18
	s_delay_alu instid0(VALU_DEP_3)
	v_dual_mov_b32 v10, v31 :: v_dual_mov_b32 v6, v25
	v_mov_b32_e32 v2, v19
	ds_store_b128 v17, v[8:11]
	ds_store_b128 v17, v[4:7] offset:16
	ds_store_b128 v17, v[0:3] offset:32
	s_cbranch_vccz .LBB1_27
; %bb.26:                               ;   in Loop: Header=BB1_1 Depth=1
	v_mov_b32_e32 v17, v16
	s_mov_b32 s31, 1
	s_branch .LBB1_1
.LBB1_27:
	ds_load_b128 v[0:3], v20 offset:48
	ds_load_b128 v[4:7], v20 offset:80
	ds_load_b128 v[8:11], v20
	ds_load_b128 v[12:15], v20 offset:32
	ds_load_b128 v[16:19], v20 offset:64
	s_clause 0x1
	s_load_b64 s[4:5], s[2:3], 0x0
	s_load_b128 s[12:15], s[2:3], 0x48
	ds_load_b128 v[20:23], v20 offset:16
	s_wait_dscnt 0x5
	v_dual_mov_b32 v39, 0 :: v_dual_mov_b32 v30, v0
	s_wait_dscnt 0x4
	v_dual_mov_b32 v31, v4 :: v_dual_mov_b32 v4, v1
	;; [unrolled: 2-line block ×3, first 2 shown]
	v_dual_mov_b32 v32, v8 :: v_dual_mov_b32 v33, v12
	v_dual_mov_b32 v12, v9 :: v_dual_mov_b32 v11, v14
	v_mov_b64_e32 v[14:15], s[6:7]
	v_dual_mov_b32 v28, v3 :: v_dual_mov_b32 v29, v7
	v_mov_b32_e32 v3, v6
	s_wait_kmcnt 0x0
	s_max_i32 s5, s5, 1
	s_max_i32 s18, s4, 1
	s_add_nc_u64 s[6:7], s[8:9], 8
	s_mov_b32 s9, 0
	s_mov_b32 s8, 0x42340000
.LBB1_28:                               ; =>This Loop Header: Depth=1
                                        ;     Child Loop BB1_29 Depth 2
	v_mov_b32_e32 v6, s9
	s_mov_b32 s19, s5
	s_mov_b64 s[16:17], s[6:7]
	global_load_b128 v[24:27], v6, s[10:11] scale_offset
	s_wait_loadcnt 0x0
	global_load_b128 v[6:9], v27, s[14:15] scale_offset
	s_wait_dscnt 0x0
	v_fma_f32 v40, v24, v20, v23
	v_pk_fma_f32 v[34:35], v[24:25], v[32:33], v[0:1] op_sel_hi:[0,1,1]
	v_fma_f32 v41, v24, v16, v19
	v_pk_fma_f32 v[36:37], v[24:25], v[30:31], v[28:29] op_sel_hi:[0,1,1]
	s_delay_alu instid0(VALU_DEP_4) | instskip(NEXT) | instid1(VALU_DEP_4)
	v_fmac_f32_e32 v40, v25, v21
	v_pk_fma_f32 v[34:35], v[24:25], v[12:13], v[34:35] op_sel:[1,0,0]
	s_delay_alu instid0(VALU_DEP_4) | instskip(NEXT) | instid1(VALU_DEP_4)
	v_fmac_f32_e32 v41, v25, v17
	v_pk_fma_f32 v[24:25], v[24:25], v[4:5], v[36:37] op_sel:[1,0,0]
	s_delay_alu instid0(VALU_DEP_4) | instskip(NEXT) | instid1(VALU_DEP_4)
	v_fmac_f32_e32 v40, v26, v22
	v_pk_fma_f32 v[34:35], v[26:27], v[10:11], v[34:35] op_sel_hi:[0,1,1]
	s_delay_alu instid0(VALU_DEP_4) | instskip(NEXT) | instid1(VALU_DEP_4)
	v_fmac_f32_e32 v41, v26, v18
	v_pk_fma_f32 v[36:37], v[26:27], v[2:3], v[24:25] op_sel_hi:[0,1,1]
	s_wait_loadcnt 0x0
	v_readfirstlane_b32 s20, v8
	v_readfirstlane_b32 s1, v6
	v_mov_b32_e32 v8, v9
	s_cmp_gt_f32 s20, 0
	s_cselect_b32 s21, -1, 0
	s_cmp_eq_u32 s1, 0x46
	s_cselect_b32 s22, -1, 0
	s_cmp_eq_u32 s1, 0x45
	s_cselect_b32 s23, -1, 0
	s_cmp_lt_f32 s20, 0
	s_cselect_b32 s24, -1, 0
	s_delay_alu instid0(SALU_CYCLE_1)
	s_and_b32 s1, s24, exec_lo
	s_cselect_b32 s25, 0x40b00000, 1.0
	s_cselect_b32 s27, 1.0, 0xff7fffff
	s_xor_b32 s28, s20, 0x80000000
.LBB1_29:                               ;   Parent Loop BB1_28 Depth=1
                                        ; =>  This Inner Loop Header: Depth=2
	global_load_b128 v[42:45], v39, s[16:17] offset:-8
	s_wait_xcnt 0x0
	s_add_nc_u64 s[16:17], s[16:17], 16
	s_wait_loadcnt 0x0
	global_load_b128 v[24:27], v45, s[14:15] scale_offset
	v_dual_mov_b32 v46, v42 :: v_dual_mov_b32 v47, v44
	v_dual_sub_f32 v6, v40, v43 :: v_dual_sub_f32 v9, v41, v43
	s_delay_alu instid0(VALU_DEP_2) | instskip(SKIP_2) | instid1(VALU_DEP_2)
	v_pk_add_f32 v[42:43], v[34:35], v[46:47] neg_lo:[0,1] neg_hi:[0,1]
	s_wait_xcnt 0x0
	v_pk_add_f32 v[44:45], v[36:37], v[46:47] neg_lo:[0,1] neg_hi:[0,1]
	v_pk_mul_f32 v[42:43], v[42:43], v[42:43]
	s_delay_alu instid0(VALU_DEP_2) | instskip(NEXT) | instid1(VALU_DEP_1)
	v_pk_mul_f32 v[44:45], v[44:45], v[44:45]
	v_dual_fma_f32 v6, v6, v6, v42 :: v_dual_fma_f32 v9, v9, v9, v44
	s_delay_alu instid0(VALU_DEP_1) | instskip(NEXT) | instid1(VALU_DEP_1)
	v_dual_add_f32 v6, v6, v43 :: v_dual_add_f32 v9, v9, v45
	v_dual_mul_f32 v42, 0x4f800000, v6 :: v_dual_mul_f32 v43, 0x4f800000, v9
	v_cmp_gt_f32_e64 s1, 0xf800000, v6
	v_cmp_gt_f32_e32 vcc_lo, 0xf800000, v9
	s_delay_alu instid0(VALU_DEP_2) | instskip(NEXT) | instid1(VALU_DEP_1)
	v_dual_cndmask_b32 v6, v6, v42, s1 :: v_dual_cndmask_b32 v9, v9, v43, vcc_lo
	v_sqrt_f32_e32 v42, v6
	s_delay_alu instid0(VALU_DEP_1) | instskip(SKIP_1) | instid1(TRANS32_DEP_1)
	v_sqrt_f32_e32 v43, v9
	v_nop
	v_dual_add_nc_u32 v44, -1, v42 :: v_dual_add_nc_u32 v45, -1, v43
	v_dual_add_nc_u32 v46, 1, v42 :: v_dual_add_nc_u32 v47, 1, v43
	s_delay_alu instid0(VALU_DEP_2) | instskip(NEXT) | instid1(VALU_DEP_2)
	v_dual_fma_f32 v48, -v44, v42, v6 :: v_dual_fma_f32 v49, -v45, v43, v9
	v_dual_fma_f32 v50, -v46, v42, v6 :: v_dual_fma_f32 v51, -v47, v43, v9
	s_delay_alu instid0(VALU_DEP_2) | instskip(NEXT) | instid1(VALU_DEP_2)
	v_cmp_ge_f32_e64 s2, 0, v48
	v_cmp_lt_f32_e64 s3, 0, v50
	s_delay_alu instid0(VALU_DEP_2) | instskip(SKIP_1) | instid1(VALU_DEP_1)
	v_cndmask_b32_e64 v42, v42, v44, s2
	v_cmp_ge_f32_e64 s2, 0, v49
	v_cndmask_b32_e64 v43, v43, v45, s2
	v_cmp_lt_f32_e64 s2, 0, v51
	s_delay_alu instid0(VALU_DEP_1) | instskip(NEXT) | instid1(VALU_DEP_1)
	v_dual_cndmask_b32 v42, v42, v46, s3 :: v_dual_cndmask_b32 v43, v43, v47, s2
	v_dual_mul_f32 v44, 0x37800000, v42 :: v_dual_mul_f32 v45, 0x37800000, v43
	s_delay_alu instid0(VALU_DEP_1) | instskip(SKIP_1) | instid1(VALU_DEP_3)
	v_cndmask_b32_e64 v42, v42, v44, s1
	v_cmp_class_f32_e64 s1, v6, 0x260
	v_cndmask_b32_e32 v43, v43, v45, vcc_lo
	v_cmp_class_f32_e64 vcc_lo, v9, 0x260
	s_delay_alu instid0(VALU_DEP_1)
	v_dual_cndmask_b32 v42, v42, v6, s1 :: v_dual_cndmask_b32 v43, v43, v9, vcc_lo
	s_wait_loadcnt 0x0
	v_readfirstlane_b32 s2, v24
	v_add_f32_e32 v6, v7, v25
	v_readfirstlane_b32 s29, v26
	v_mov_b32_e32 v24, v27
	s_cmp_eq_u32 s2, 0x46
	v_pk_add_f32 v[26:27], v[42:43], v[6:7] op_sel_hi:[1,0] neg_lo:[0,1] neg_hi:[0,1]
	s_cselect_b32 s1, -1, 0
	s_delay_alu instid0(SALU_CYCLE_1) | instskip(NEXT) | instid1(VALU_DEP_1)
	s_and_b32 s3, s1, s22
	v_cmp_gt_f32_e64 s1, 0, v27
	s_and_b32 s3, s3, exec_lo
	s_cselect_b32 s4, 4.0, 2.0
	s_cselect_b32 s3, 0x3e800000, 0.5
	s_cmp_eq_u32 s2, 0x45
	v_fma_f32 v44, -s3, v26, 1.0
	v_cmp_gt_f32_e64 s2, 0, v26
	v_fma_f32 v25, -s3, v27, 1.0
	v_cmp_gt_f32_e64 s3, s4, v26
	s_cselect_b32 s30, -1, 0
	v_cndmask_b32_e64 v45, 0, 0x42980000, s1
	v_cndmask_b32_e64 v51, v44, 1.0, s2
	v_cndmask_b32_e64 v25, v25, 1.0, s1
	;; [unrolled: 1-line block ×3, first 2 shown]
	v_cmp_gt_f32_e64 s3, s4, v27
	v_cndmask_b32_e64 v44, 0, 0x42980000, s2
	s_delay_alu instid0(VALU_DEP_3) | instskip(SKIP_2) | instid1(VALU_DEP_2)
	v_mul_f32_e32 v46, v46, v51
	v_div_scale_f32 v9, null, v6, v6, 1.0
	v_div_scale_f32 v48, vcc_lo, 1.0, v6, 1.0
	v_rcp_f32_e32 v50, v9
	v_xor_b32_e32 v49, 0x80000000, v9
	v_cndmask_b32_e64 v9, 0, 1.0, s3
	s_or_b32 s3, s30, s23
	s_cmp_gt_f32 s29, 0
	s_delay_alu instid0(TRANS32_DEP_1) | instid1(VALU_DEP_2)
	v_fma_f32 v47, v49, v50, 1.0
	s_delay_alu instid0(VALU_DEP_2) | instskip(SKIP_2) | instid1(VALU_DEP_1)
	v_pk_mul_f32 v[24:25], v[8:9], v[24:25]
	s_cselect_b32 s30, -1, 0
	s_cmp_neq_f32 s29, 0
	v_dual_fmac_f32 v50, v47, v50 :: v_dual_mov_b32 v47, v25
	s_cselect_b32 s31, -1, 0
	s_cmp_lt_f32 s29, 0
	s_delay_alu instid0(VALU_DEP_1) | instskip(NEXT) | instid1(VALU_DEP_2)
	v_mul_f32_e32 v9, v48, v50
	v_pk_mul_f32 v[24:25], v[24:25], v[46:47] op_sel_hi:[0,1]
	s_delay_alu instid0(VALU_DEP_2) | instskip(NEXT) | instid1(VALU_DEP_2)
	v_fma_f32 v51, v49, v9, v48
	v_cndmask_b32_e64 v25, v25, -|v25|, s3
	s_delay_alu instid0(VALU_DEP_3) | instskip(SKIP_1) | instid1(VALU_DEP_3)
	v_cndmask_b32_e64 v24, v24, -|v24|, s3
	s_cselect_b32 s3, -1, 0
	v_fmac_f32_e32 v9, v51, v50
	s_and_b32 s4, s3, exec_lo
	s_cselect_b32 s33, s25, s27
	s_and_b32 s3, s3, s21
	s_xor_b32 s34, s29, 0x80000000
	v_fmac_f32_e32 v48, v49, v9
	s_and_b32 s3, s3, exec_lo
	v_cmp_gt_f32_e64 s3, s33, v27
	v_cmp_gt_f32_e64 s4, s33, v26
	s_cselect_b32 s29, s34, s29
	v_div_fmas_f32 v9, v48, v50, v9
	v_div_scale_f32 v46, vcc_lo, 1.0, s33, 1.0
	s_and_b32 s30, s30, s24
	v_div_fixup_f32 v6, v9, v6, 1.0
	v_div_scale_f32 v9, null, s33, s33, 1.0
	s_and_b32 s30, s30, exec_lo
	s_cselect_b32 s30, s28, s20
	v_pk_fma_f32 v[42:43], v[6:7], v[42:43], 1.0 op_sel_hi:[0,1,0] neg_lo:[1,0,0] neg_hi:[1,0,0]
	v_rcp_f32_e32 v48, v9
	v_nop
	v_xor_b32_e32 v9, 0x80000000, v9
	s_and_b32 s4, s31, s4
	s_and_b32 s3, s31, s3
	v_pk_fma_f32 v[14:15], v[42:43], v[44:45], v[14:15]
	s_add_co_i32 s19, s19, -1
	v_fma_f32 v47, v9, v48, 1.0
	s_cmp_lg_u32 s19, 0
	s_delay_alu instid0(VALU_DEP_2) | instskip(NEXT) | instid1(VALU_DEP_2)
	v_pk_fma_f32 v[14:15], v[24:25], s[8:9], v[14:15] op_sel_hi:[1,0,1]
	v_fmac_f32_e32 v48, v47, v48
	s_delay_alu instid0(VALU_DEP_1) | instskip(NEXT) | instid1(VALU_DEP_1)
	v_mul_f32_e32 v6, v46, v48
	v_fma_f32 v47, v9, v6, v46
	s_delay_alu instid0(VALU_DEP_1) | instskip(SKIP_1) | instid1(VALU_DEP_2)
	v_fmac_f32_e32 v6, v47, v48
	v_cndmask_b32_e64 v47, 0, 1.0, s3
	v_fmac_f32_e32 v46, v9, v6
	s_delay_alu instid0(VALU_DEP_1) | instskip(SKIP_2) | instid1(VALU_DEP_2)
	v_div_fmas_f32 v6, v46, v48, v6
	v_cndmask_b32_e64 v46, 0, 1.0, s4
	s_add_f32 s4, s29, s30
	v_div_fixup_f32 v6, v6, s33, 1.0
	s_delay_alu instid0(VALU_DEP_2) | instid1(SALU_CYCLE_2)
	v_pk_mul_f32 v[42:43], s[4:5], v[46:47] op_sel_hi:[0,1]
	s_delay_alu instid0(VALU_DEP_2) | instskip(NEXT) | instid1(VALU_DEP_1)
	v_pk_fma_f32 v[26:27], v[6:7], v[26:27], 1.0 op_sel_hi:[0,1,0] neg_lo:[1,0,0] neg_hi:[1,0,0]
	v_cndmask_b32_e64 v25, v27, 1.0, s1
	s_delay_alu instid0(VALU_DEP_2) | instskip(NEXT) | instid1(VALU_DEP_1)
	v_cndmask_b32_e64 v24, v26, 1.0, s2
	v_pk_fma_f32 v[14:15], v[24:25], v[42:43], v[14:15]
	s_cbranch_scc1 .LBB1_29
; %bb.30:                               ;   in Loop: Header=BB1_28 Depth=1
	s_add_co_i32 s9, s9, 1
	s_delay_alu instid0(SALU_CYCLE_1)
	s_cmp_lg_u32 s9, s18
	s_cbranch_scc1 .LBB1_28
; %bb.31:
	s_and_saveexec_b32 s1, s0
	s_cbranch_execz .LBB1_33
; %bb.32:
	v_dual_mul_f32 v0, 0.5, v14 :: v_dual_mul_f32 v1, 0.5, v15
	v_add_nc_u32_e32 v2, s26, v38
	s_clause 0x1
	global_store_b32 v38, v0, s[12:13] scale_offset
	global_store_b32 v2, v1, s[12:13] scale_offset
.LBB1_33:
	s_endpgm
	.section	.rodata,"a",@progbits
	.p2align	6, 0x0
	.amdhsa_kernel _ZL11fasten_mainILm2EEviiPK4AtomS2_PKfS4_S4_S4_S4_S4_PfPK8FFParamsi
		.amdhsa_group_segment_fixed_size 98304
		.amdhsa_private_segment_fixed_size 0
		.amdhsa_kernarg_size 352
		.amdhsa_user_sgpr_count 4
		.amdhsa_user_sgpr_dispatch_ptr 1
		.amdhsa_user_sgpr_queue_ptr 0
		.amdhsa_user_sgpr_kernarg_segment_ptr 1
		.amdhsa_user_sgpr_dispatch_id 0
		.amdhsa_user_sgpr_kernarg_preload_length 0
		.amdhsa_user_sgpr_kernarg_preload_offset 0
		.amdhsa_user_sgpr_private_segment_size 0
		.amdhsa_wavefront_size32 1
		.amdhsa_uses_dynamic_stack 0
		.amdhsa_enable_private_segment 0
		.amdhsa_system_sgpr_workgroup_id_x 1
		.amdhsa_system_sgpr_workgroup_id_y 0
		.amdhsa_system_sgpr_workgroup_id_z 0
		.amdhsa_system_sgpr_workgroup_info 0
		.amdhsa_system_vgpr_workitem_id 2
		.amdhsa_next_free_vgpr 52
		.amdhsa_next_free_sgpr 35
		.amdhsa_named_barrier_count 0
		.amdhsa_reserve_vcc 1
		.amdhsa_float_round_mode_32 0
		.amdhsa_float_round_mode_16_64 0
		.amdhsa_float_denorm_mode_32 3
		.amdhsa_float_denorm_mode_16_64 3
		.amdhsa_fp16_overflow 0
		.amdhsa_memory_ordered 1
		.amdhsa_forward_progress 1
		.amdhsa_inst_pref_size 59
		.amdhsa_round_robin_scheduling 0
		.amdhsa_exception_fp_ieee_invalid_op 0
		.amdhsa_exception_fp_denorm_src 0
		.amdhsa_exception_fp_ieee_div_zero 0
		.amdhsa_exception_fp_ieee_overflow 0
		.amdhsa_exception_fp_ieee_underflow 0
		.amdhsa_exception_fp_ieee_inexact 0
		.amdhsa_exception_int_div_zero 0
	.end_amdhsa_kernel
	.section	.text._ZL11fasten_mainILm2EEviiPK4AtomS2_PKfS4_S4_S4_S4_S4_PfPK8FFParamsi,"axG",@progbits,_ZL11fasten_mainILm2EEviiPK4AtomS2_PKfS4_S4_S4_S4_S4_PfPK8FFParamsi,comdat
.Lfunc_end1:
	.size	_ZL11fasten_mainILm2EEviiPK4AtomS2_PKfS4_S4_S4_S4_S4_PfPK8FFParamsi, .Lfunc_end1-_ZL11fasten_mainILm2EEviiPK4AtomS2_PKfS4_S4_S4_S4_S4_PfPK8FFParamsi
                                        ; -- End function
	.set _ZL11fasten_mainILm2EEviiPK4AtomS2_PKfS4_S4_S4_S4_S4_PfPK8FFParamsi.num_vgpr, 52
	.set _ZL11fasten_mainILm2EEviiPK4AtomS2_PKfS4_S4_S4_S4_S4_PfPK8FFParamsi.num_agpr, 0
	.set _ZL11fasten_mainILm2EEviiPK4AtomS2_PKfS4_S4_S4_S4_S4_PfPK8FFParamsi.numbered_sgpr, 35
	.set _ZL11fasten_mainILm2EEviiPK4AtomS2_PKfS4_S4_S4_S4_S4_PfPK8FFParamsi.num_named_barrier, 0
	.set _ZL11fasten_mainILm2EEviiPK4AtomS2_PKfS4_S4_S4_S4_S4_PfPK8FFParamsi.private_seg_size, 0
	.set _ZL11fasten_mainILm2EEviiPK4AtomS2_PKfS4_S4_S4_S4_S4_PfPK8FFParamsi.uses_vcc, 1
	.set _ZL11fasten_mainILm2EEviiPK4AtomS2_PKfS4_S4_S4_S4_S4_PfPK8FFParamsi.uses_flat_scratch, 0
	.set _ZL11fasten_mainILm2EEviiPK4AtomS2_PKfS4_S4_S4_S4_S4_PfPK8FFParamsi.has_dyn_sized_stack, 0
	.set _ZL11fasten_mainILm2EEviiPK4AtomS2_PKfS4_S4_S4_S4_S4_PfPK8FFParamsi.has_recursion, 0
	.set _ZL11fasten_mainILm2EEviiPK4AtomS2_PKfS4_S4_S4_S4_S4_PfPK8FFParamsi.has_indirect_call, 0
	.section	.AMDGPU.csdata,"",@progbits
; Kernel info:
; codeLenInByte = 7480
; TotalNumSgprs: 37
; NumVgprs: 52
; ScratchSize: 0
; MemoryBound: 0
; FloatMode: 240
; IeeeMode: 1
; LDSByteSize: 98304 bytes/workgroup (compile time only)
; SGPRBlocks: 0
; VGPRBlocks: 3
; NumSGPRsForWavesPerEU: 37
; NumVGPRsForWavesPerEU: 52
; NamedBarCnt: 0
; Occupancy: 16
; WaveLimiterHint : 1
; COMPUTE_PGM_RSRC2:SCRATCH_EN: 0
; COMPUTE_PGM_RSRC2:USER_SGPR: 4
; COMPUTE_PGM_RSRC2:TRAP_HANDLER: 0
; COMPUTE_PGM_RSRC2:TGID_X_EN: 1
; COMPUTE_PGM_RSRC2:TGID_Y_EN: 0
; COMPUTE_PGM_RSRC2:TGID_Z_EN: 0
; COMPUTE_PGM_RSRC2:TIDIG_COMP_CNT: 2
	.section	.text._ZL11fasten_mainILm4EEviiPK4AtomS2_PKfS4_S4_S4_S4_S4_PfPK8FFParamsi,"axG",@progbits,_ZL11fasten_mainILm4EEviiPK4AtomS2_PKfS4_S4_S4_S4_S4_PfPK8FFParamsi,comdat
	.globl	_ZL11fasten_mainILm4EEviiPK4AtomS2_PKfS4_S4_S4_S4_S4_PfPK8FFParamsi ; -- Begin function _ZL11fasten_mainILm4EEviiPK4AtomS2_PKfS4_S4_S4_S4_S4_PfPK8FFParamsi
	.p2align	8
	.type	_ZL11fasten_mainILm4EEviiPK4AtomS2_PKfS4_S4_S4_S4_S4_PfPK8FFParamsi,@function
_ZL11fasten_mainILm4EEviiPK4AtomS2_PKfS4_S4_S4_S4_S4_PfPK8FFParamsi: ; @_ZL11fasten_mainILm4EEviiPK4AtomS2_PKfS4_S4_S4_S4_S4_PfPK8FFParamsi
; %bb.0:
	s_clause 0x1
	s_load_b32 s2, s[0:1], 0x6c
	s_load_b32 s3, s[0:1], 0x58
	s_bfe_u32 s4, ttmp6, 0x4000c
	s_and_b32 s5, ttmp6, 15
	s_add_co_i32 s4, s4, 1
	s_getreg_b32 s6, hwreg(HW_REG_IB_STS2, 6, 4)
	s_mul_i32 s4, ttmp9, s4
	s_load_b512 s[16:31], s[0:1], 0x8
	s_add_co_i32 s5, s5, s4
	s_mov_b32 s7, 0
	s_mov_b64 s[8:9], 0xfe5163ab
	s_mov_b32 s10, 0x7fffff
	s_mov_b32 s11, 0xb94c1982
	;; [unrolled: 1-line block ×4, first 2 shown]
	v_mov_b32_e32 v15, 0
	s_wait_kmcnt 0x0
	s_and_b32 s33, s2, 0xffff
	s_cmp_eq_u32 s6, 0
	s_cselect_b32 s2, ttmp9, s5
	s_add_co_i32 s4, s3, -4
	s_mul_i32 s2, s2, s33
	s_mov_b32 s5, 0
	v_lshl_add_u32 v72, s2, 2, v0
	s_lshl_b32 s6, s33, 2
	s_delay_alu instid0(VALU_DEP_1) | instskip(NEXT) | instid1(VALU_DEP_1)
	v_cmp_gt_i32_e64 s2, s3, v72
	v_cndmask_b32_e64 v0, s4, v72, s2
	s_delay_alu instid0(VALU_DEP_1) | instskip(NEXT) | instid1(VALU_DEP_1)
	v_ashrrev_i32_e32 v1, 31, v0
	v_lshlrev_b64_e32 v[12:13], 2, v[0:1]
	s_branch .LBB2_2
.LBB2_1:                                ;   in Loop: Header=BB2_2 Depth=1
	s_or_b32 exec_lo, exec_lo, s3
	v_add_nc_u64_e32 v[26:27], s[26:27], v[12:13]
	v_add_nc_u64_e32 v[28:29], s[28:29], v[12:13]
	;; [unrolled: 1-line block ×3, first 2 shown]
	v_dual_mul_f32 v32, v2, v2 :: v_dual_bitop2_b32 v33, 1, v4 bitop3:0x40
	v_dual_lshlrev_b32 v4, 30, v4 :: v_dual_mul_f32 v34, v23, v23
	global_load_b32 v11, v[26:27], off
	global_load_b32 v7, v[28:29], off
	global_load_b32 v3, v[30:31], off
	v_dual_mul_f32 v14, v21, v21 :: v_dual_bitop2_b32 v25, 1, v22 bitop3:0x40
	s_wait_xcnt 0x0
	v_dual_mul_f32 v30, v5, v5 :: v_dual_bitop2_b32 v31, 1, v8 bitop3:0x40
	v_fmaak_f32 v46, s11, v34, 0x3c0881c4
	s_delay_alu instid0(VALU_DEP_3) | instskip(SKIP_1) | instid1(VALU_DEP_4)
	v_fmaak_f32 v36, s11, v14, 0x3c0881c4
	v_dual_lshlrev_b32 v22, 30, v22 :: v_dual_mul_f32 v26, v17, v17
	v_fmaak_f32 v42, s11, v30, 0x3c0881c4
	s_delay_alu instid0(VALU_DEP_4) | instskip(SKIP_2) | instid1(VALU_DEP_4)
	v_fmaak_f32 v46, v34, v46, 0xbe2aaa9d
	v_fmaak_f32 v45, s12, v32, 0xbab64f3b
	v_dual_mul_f32 v28, v10, v10 :: v_dual_bitop2_b32 v27, 1, v19 bitop3:0x40
	v_fmaak_f32 v42, v30, v42, 0xbe2aaa9d
	s_delay_alu instid0(VALU_DEP_4) | instskip(SKIP_2) | instid1(VALU_DEP_4)
	v_mul_f32_e32 v46, v34, v46
	v_fmaak_f32 v36, v14, v36, 0xbe2aaa9d
	v_fmaak_f32 v45, v32, v45, 0x3d2aabf7
	v_dual_fmaak_f32 v41, s12, v28, 0xbab64f3b :: v_dual_mul_f32 v42, v30, v42
	s_delay_alu instid0(VALU_DEP_4) | instskip(NEXT) | instid1(VALU_DEP_4)
	v_fmac_f32_e32 v23, v23, v46
	v_dual_fmaak_f32 v37, s12, v14, 0xbab64f3b :: v_dual_mul_f32 v36, v14, v36
	v_fmaak_f32 v38, s11, v26, 0x3c0881c4
	s_delay_alu instid0(VALU_DEP_4) | instskip(SKIP_1) | instid1(VALU_DEP_3)
	v_dual_fmaak_f32 v44, s11, v32, 0x3c0881c4 :: v_dual_fmac_f32 v5, v5, v42
	v_fmaak_f32 v45, v32, v45, 0xbf000004
	v_dual_fmac_f32 v21, v21, v36 :: v_dual_fmaak_f32 v38, v26, v38, 0xbe2aaa9d
	v_xor_b32_e32 v1, v1, v0
	s_delay_alu instid0(VALU_DEP_4)
	v_fmaak_f32 v44, v32, v44, 0xbe2aaa9d
	v_fmaak_f32 v43, s12, v30, 0xbab64f3b
	v_cmp_eq_u32_e32 vcc_lo, 0, v25
	v_mul_f32_e32 v38, v26, v38
	v_fmaak_f32 v40, s11, v28, 0x3c0881c4
	v_mul_f32_e32 v44, v32, v44
	v_fmaak_f32 v41, v28, v41, 0x3d2aabf7
	v_fma_f32 v32, v32, v45, 1.0
	s_delay_alu instid0(VALU_DEP_4) | instskip(NEXT) | instid1(VALU_DEP_4)
	v_dual_fmac_f32 v17, v17, v38 :: v_dual_fmaak_f32 v40, v28, v40, 0xbe2aaa9d
	v_dual_fmaak_f32 v39, s12, v26, 0xbab64f3b :: v_dual_fmac_f32 v2, v2, v44
	s_delay_alu instid0(VALU_DEP_4) | instskip(SKIP_1) | instid1(VALU_DEP_4)
	v_fmaak_f32 v41, v28, v41, 0xbf000004
	v_dual_lshlrev_b32 v16, 30, v16 :: v_dual_bitop2_b32 v29, 1, v16 bitop3:0x40
	v_dual_mul_f32 v40, v28, v40 :: v_dual_fmaak_f32 v47, s12, v34, 0xbab64f3b
	s_delay_alu instid0(VALU_DEP_3) | instskip(SKIP_2) | instid1(VALU_DEP_4)
	v_fma_f32 v28, v28, v41, 1.0
	v_fmaak_f32 v39, v26, v39, 0x3d2aabf7
	v_fmaak_f32 v43, v30, v43, 0x3d2aabf7
	v_fmac_f32_e32 v10, v10, v40
	v_fmaak_f32 v37, v14, v37, 0x3d2aabf7
	v_fmaak_f32 v47, v34, v47, 0x3d2aabf7
	;; [unrolled: 1-line block ×4, first 2 shown]
	v_dual_lshlrev_b32 v24, 30, v24 :: v_dual_bitop2_b32 v35, 1, v24 bitop3:0x40
	v_fmaak_f32 v37, v14, v37, 0xbf000004
	s_delay_alu instid0(VALU_DEP_4) | instskip(NEXT) | instid1(VALU_DEP_4)
	v_fma_f32 v26, v26, v39, 1.0
	v_fma_f32 v30, v30, v43, 1.0
	v_fmaak_f32 v47, v34, v47, 0xbf000004
	v_dual_lshlrev_b32 v19, 30, v19 :: v_dual_bitop2_b32 v20, v20, v18 bitop3:0x14
	v_fma_f32 v14, v14, v37, 1.0
	v_dual_lshlrev_b32 v8, 30, v8 :: v_dual_bitop2_b32 v9, v9, v6 bitop3:0x14
	s_delay_alu instid0(VALU_DEP_4) | instskip(SKIP_1) | instid1(VALU_DEP_4)
	v_fma_f32 v34, v34, v47, 1.0
	v_and_b32_e32 v4, 0x80000000, v4
	v_cndmask_b32_e32 v14, v14, v21, vcc_lo
	v_cmp_eq_u32_e32 vcc_lo, 0, v27
	v_and_b32_e32 v22, 0x80000000, v22
	v_and_b32_e32 v16, 0x80000000, v16
	v_cmp_class_f32_e64 s3, v0, 0x1f8
	v_cmp_class_f32_e64 s4, v6, 0x1f8
	v_cndmask_b32_e64 v17, -v17, v26, vcc_lo
	v_cmp_eq_u32_e32 vcc_lo, 0, v29
	v_xor3_b32 v14, v20, v22, v14
	v_add_nc_u64_e32 v[12:13], s[6:7], v[12:13]
	s_add_co_i32 s14, s13, 16
	v_bitop3_b32 v17, v19, v17, 0x80000000 bitop3:0x6c
	v_cndmask_b32_e32 v10, v28, v10, vcc_lo
	v_cmp_eq_u32_e32 vcc_lo, 0, v31
	s_add_co_i32 s13, s13, 48
	scratch_store_b32 off, v15, s5
	v_cndmask_b32_e64 v6, 0x7fc00000, v17, s4
	v_xor3_b32 v9, v9, v16, v10
	v_cndmask_b32_e64 v5, -v5, v30, vcc_lo
	v_cmp_eq_u32_e32 vcc_lo, 0, v33
	s_wait_xcnt 0x0
	s_add_co_i32 s5, s5, 4
	s_cmp_lg_u32 s13, 0xc0
	v_bitop3_b32 v5, v8, v5, 0x80000000 bitop3:0x6c
	v_cndmask_b32_e32 v2, v32, v2, vcc_lo
	v_cmp_eq_u32_e32 vcc_lo, 0, v35
	s_delay_alu instid0(VALU_DEP_3) | instskip(NEXT) | instid1(VALU_DEP_3)
	v_cndmask_b32_e64 v17, 0x7fc00000, v5, s3
	v_xor3_b32 v1, v1, v4, v2
	v_cndmask_b32_e64 v21, -v23, v34, vcc_lo
	v_cmp_class_f32_e64 vcc_lo, v18, 0x1f8
	s_delay_alu instid0(VALU_DEP_4) | instskip(NEXT) | instid1(VALU_DEP_4)
	v_mov_b32_e32 v18, v17
	v_cndmask_b32_e64 v16, 0x7fc00000, v1, s3
	s_delay_alu instid0(VALU_DEP_4) | instskip(NEXT) | instid1(VALU_DEP_2)
	v_bitop3_b32 v0, v24, v21, 0x80000000 bitop3:0x6c
	v_dual_cndmask_b32 v2, 0x7fc00000, v14 :: v_dual_mov_b32 v19, v16
	s_delay_alu instid0(VALU_DEP_2) | instskip(SKIP_1) | instid1(VALU_DEP_3)
	v_cndmask_b32_e32 v10, 0x7fc00000, v0, vcc_lo
	v_cndmask_b32_e64 v0, 0x7fc00000, v9, s4
	v_mul_f32_e32 v4, v6, v2
	s_delay_alu instid0(VALU_DEP_3) | instskip(NEXT) | instid1(VALU_DEP_3)
	v_mul_f32_e32 v8, v6, v10
	v_pk_mul_f32 v[20:21], v[16:17], v[0:1] op_sel_hi:[1,0]
	v_xor_b32_e32 v0, 0x80000000, v0
	s_wait_loadcnt 0x2
	v_pk_mul_f32 v[18:19], v[18:19], v[10:11] op_sel_hi:[1,0]
	s_delay_alu instid0(VALU_DEP_3) | instskip(SKIP_4) | instid1(VALU_DEP_3)
	v_pk_mul_f32 v[24:25], v[20:21], v[10:11] op_sel_hi:[1,0]
	s_wait_loadcnt 0x0
	v_pk_mul_f32 v[22:23], v[16:17], v[2:3] op_sel_hi:[1,0]
	v_pk_mul_f32 v[28:29], v[20:21], v[2:3] op_sel_hi:[1,0]
	;; [unrolled: 1-line block ×3, first 2 shown]
	v_pk_fma_f32 v[26:27], v[20:21], v[10:11], v[22:23] op_sel:[0,0,1] op_sel_hi:[1,0,0]
	v_pk_fma_f32 v[20:21], v[20:21], v[2:3], v[18:19] op_sel_hi:[1,0,1] neg_lo:[0,0,1] neg_hi:[0,0,1]
	v_sub_f32_e32 v9, v24, v23
	v_add_f32_e32 v5, v28, v18
	s_delay_alu instid0(VALU_DEP_4) | instskip(NEXT) | instid1(VALU_DEP_4)
	v_dual_mov_b32 v1, v16 :: v_dual_mov_b32 v10, v27
	v_dual_mov_b32 v6, v21 :: v_dual_mov_b32 v2, v17
	s_clause 0x2
	scratch_store_b128 off, v[8:11], s14
	scratch_store_b128 off, v[4:7], s14 offset:16
	scratch_store_b128 off, v[0:3], s14 offset:32
	s_cbranch_scc0 .LBB2_26
.LBB2_2:                                ; =>This Inner Loop Header: Depth=1
	s_wait_xcnt 0x0
	s_delay_alu instid0(VALU_DEP_1)
	v_add_nc_u64_e32 v[0:1], s[20:21], v[12:13]
                                        ; implicit-def: $vgpr4
	global_load_b32 v0, v[0:1], off
	s_wait_loadcnt 0x0
	s_wait_xcnt 0x0
	v_and_b32_e32 v1, 0x7fffffff, v0
	v_cmp_ngt_f32_e64 s14, 0x48000000, |v0|
	s_delay_alu instid0(VALU_DEP_2) | instskip(SKIP_1) | instid1(VALU_DEP_2)
	v_lshrrev_b32_e32 v2, 23, v1
	v_and_or_b32 v14, v1, s10, 0x800000
	v_add_nc_u32_e32 v3, 0xffffff88, v2
                                        ; implicit-def: $vgpr2
	s_and_saveexec_b32 s3, s14
	s_delay_alu instid0(SALU_CYCLE_1)
	s_xor_b32 s15, exec_lo, s3
	s_cbranch_execz .LBB2_4
; %bb.3:                                ;   in Loop: Header=BB2_2 Depth=1
	v_mul_u64_e32 v[4:5], s[8:9], v[14:15]
	v_mov_b32_e32 v7, v15
	v_cmp_lt_u32_e32 vcc_lo, 63, v3
	v_mov_b32_e32 v21, v15
	v_cndmask_b32_e64 v2, 0, 0xffffffc0, vcc_lo
	s_delay_alu instid0(VALU_DEP_1) | instskip(NEXT) | instid1(VALU_DEP_1)
	v_add_nc_u32_e32 v2, v2, v3
	v_cmp_lt_u32_e64 s3, 31, v2
	v_mov_b32_e32 v6, v5
	s_delay_alu instid0(VALU_DEP_2) | instskip(NEXT) | instid1(VALU_DEP_2)
	v_cndmask_b32_e64 v5, 0, 0xffffffe0, s3
	v_mad_nc_u64_u32 v[6:7], 0x3c439041, v14, v[6:7]
	s_delay_alu instid0(VALU_DEP_2) | instskip(NEXT) | instid1(VALU_DEP_1)
	v_dual_mov_b32 v9, v15 :: v_dual_add_nc_u32 v2, v5, v2
	v_cmp_lt_u32_e64 s4, 31, v2
	s_delay_alu instid0(VALU_DEP_3) | instskip(NEXT) | instid1(VALU_DEP_2)
	v_mov_b32_e32 v8, v7
	v_cndmask_b32_e64 v5, 0, 0xffffffe0, s4
	s_delay_alu instid0(VALU_DEP_2) | instskip(NEXT) | instid1(VALU_DEP_1)
	v_mad_nc_u64_u32 v[8:9], 0xdb629599, v14, v[8:9]
	v_dual_mov_b32 v11, v15 :: v_dual_mov_b32 v10, v9
	s_delay_alu instid0(VALU_DEP_2) | instskip(NEXT) | instid1(VALU_DEP_2)
	v_cndmask_b32_e32 v4, v8, v4, vcc_lo
	v_mad_nc_u64_u32 v[10:11], 0xf534ddc0, v14, v[10:11]
	s_delay_alu instid0(VALU_DEP_1) | instskip(NEXT) | instid1(VALU_DEP_1)
	v_dual_mov_b32 v17, v15 :: v_dual_mov_b32 v16, v11
	v_mad_nc_u64_u32 v[16:17], 0xfc2757d1, v14, v[16:17]
	s_delay_alu instid0(VALU_DEP_1) | instskip(NEXT) | instid1(VALU_DEP_1)
	v_dual_mov_b32 v19, v15 :: v_dual_mov_b32 v18, v17
	v_mad_nc_u64_u32 v[18:19], 0x4e441529, v14, v[18:19]
	s_delay_alu instid0(VALU_DEP_1) | instskip(NEXT) | instid1(VALU_DEP_1)
	v_mov_b32_e32 v20, v19
	v_mad_nc_u64_u32 v[20:21], 0xa2f9836e, v14, v[20:21]
	s_delay_alu instid0(VALU_DEP_1) | instskip(NEXT) | instid1(VALU_DEP_2)
	v_dual_cndmask_b32 v7, v18, v10, vcc_lo :: v_dual_cndmask_b32 v9, v20, v16, vcc_lo
	v_dual_cndmask_b32 v11, v21, v18 :: v_dual_cndmask_b32 v16, v16, v8
	v_add_nc_u32_e32 v2, v5, v2
	s_delay_alu instid0(VALU_DEP_3) | instskip(NEXT) | instid1(VALU_DEP_3)
	v_dual_cndmask_b32 v5, v10, v6, vcc_lo :: v_dual_cndmask_b32 v6, v9, v7, s3
	v_cndmask_b32_e64 v9, v11, v9, s3
	s_delay_alu instid0(VALU_DEP_3) | instskip(NEXT) | instid1(VALU_DEP_3)
	v_dual_cndmask_b32 v7, v7, v16, s3 :: v_dual_sub_nc_u32 v10, 32, v2
	v_cndmask_b32_e64 v11, v16, v5, s3
	v_cmp_eq_u32_e32 vcc_lo, 0, v2
	s_delay_alu instid0(VALU_DEP_3) | instskip(NEXT) | instid1(VALU_DEP_1)
	v_dual_cndmask_b32 v9, v9, v6, s4 :: v_dual_cndmask_b32 v6, v6, v7, s4
	v_alignbit_b32 v16, v9, v6, v10
	s_delay_alu instid0(VALU_DEP_1) | instskip(NEXT) | instid1(VALU_DEP_1)
	v_dual_cndmask_b32 v7, v7, v11, s4 :: v_dual_cndmask_b32 v2, v16, v9, vcc_lo
	v_alignbit_b32 v8, v6, v7, v10
	s_delay_alu instid0(VALU_DEP_1) | instskip(NEXT) | instid1(VALU_DEP_3)
	v_dual_cndmask_b32 v4, v5, v4, s3 :: v_dual_cndmask_b32 v5, v8, v6, vcc_lo
	v_bfe_u32 v6, v2, 29, 1
	s_delay_alu instid0(VALU_DEP_2) | instskip(NEXT) | instid1(VALU_DEP_3)
	v_cndmask_b32_e64 v4, v11, v4, s4
	v_alignbit_b32 v8, v2, v5, 30
	s_delay_alu instid0(VALU_DEP_3) | instskip(NEXT) | instid1(VALU_DEP_3)
	v_sub_nc_u32_e32 v9, 0, v6
	v_alignbit_b32 v10, v7, v4, v10
	s_delay_alu instid0(VALU_DEP_1) | instskip(NEXT) | instid1(VALU_DEP_1)
	v_dual_cndmask_b32 v7, v10, v7, vcc_lo :: v_dual_bitop2_b32 v8, v8, v9 bitop3:0x14
	v_clz_i32_u32_e32 v10, v8
	s_delay_alu instid0(VALU_DEP_2) | instskip(SKIP_1) | instid1(VALU_DEP_3)
	v_alignbit_b32 v5, v5, v7, 30
	v_alignbit_b32 v4, v7, v4, 30
	v_min_u32_e32 v10, 32, v10
	s_delay_alu instid0(VALU_DEP_3) | instskip(NEXT) | instid1(VALU_DEP_3)
	v_xor_b32_e32 v5, v5, v9
	v_dual_lshrrev_b32 v9, 29, v2 :: v_dual_bitop2_b32 v4, v4, v9 bitop3:0x14
	s_delay_alu instid0(VALU_DEP_3) | instskip(NEXT) | instid1(VALU_DEP_1)
	v_dual_sub_nc_u32 v7, 31, v10 :: v_dual_lshlrev_b32 v11, 23, v10
	v_alignbit_b32 v8, v8, v5, v7
	s_delay_alu instid0(VALU_DEP_3) | instskip(NEXT) | instid1(VALU_DEP_4)
	v_alignbit_b32 v4, v5, v4, v7
	v_lshlrev_b32_e32 v5, 31, v9
	s_delay_alu instid0(VALU_DEP_2) | instskip(NEXT) | instid1(VALU_DEP_2)
	v_alignbit_b32 v7, v8, v4, 9
	v_dual_lshrrev_b32 v8, 9, v8 :: v_dual_bitop2_b32 v9, 0.5, v5 bitop3:0x54
	v_or_b32_e32 v5, 0x33000000, v5
	s_delay_alu instid0(VALU_DEP_3) | instskip(NEXT) | instid1(VALU_DEP_3)
	v_clz_i32_u32_e32 v16, v7
	v_sub_nc_u32_e32 v9, v9, v11
	s_delay_alu instid0(VALU_DEP_2) | instskip(NEXT) | instid1(VALU_DEP_1)
	v_min_u32_e32 v11, 32, v16
	v_add_lshl_u32 v10, v11, v10, 23
	s_delay_alu instid0(VALU_DEP_3) | instskip(SKIP_1) | instid1(VALU_DEP_2)
	v_or_b32_e32 v8, v8, v9
	v_not_b32_e32 v9, v11
	v_dual_mul_f32 v16, 0x3fc90fda, v8 :: v_dual_sub_nc_u32 v5, v5, v10
	s_delay_alu instid0(VALU_DEP_2) | instskip(NEXT) | instid1(VALU_DEP_2)
	v_alignbit_b32 v4, v7, v4, v9
	v_fma_f32 v7, 0x3fc90fda, v8, -v16
	s_delay_alu instid0(VALU_DEP_2) | instskip(NEXT) | instid1(VALU_DEP_2)
	v_lshrrev_b32_e32 v4, 9, v4
	v_fmac_f32_e32 v7, 0x33a22168, v8
	s_delay_alu instid0(VALU_DEP_2) | instskip(NEXT) | instid1(VALU_DEP_1)
	v_or_b32_e32 v4, v5, v4
	v_dual_fmac_f32 v7, 0x3fc90fda, v4 :: v_dual_lshrrev_b32 v4, 30, v2
	s_delay_alu instid0(VALU_DEP_1)
	v_dual_add_nc_u32 v4, v6, v4 :: v_dual_add_f32 v2, v16, v7
.LBB2_4:                                ;   in Loop: Header=BB2_2 Depth=1
	s_or_saveexec_b32 s3, s15
	v_mul_f32_e64 v5, 0x3f22f983, |v0|
	s_delay_alu instid0(VALU_DEP_1)
	v_rndne_f32_e32 v6, v5
	s_xor_b32 exec_lo, exec_lo, s3
; %bb.5:                                ;   in Loop: Header=BB2_2 Depth=1
	s_delay_alu instid0(VALU_DEP_1) | instskip(SKIP_1) | instid1(VALU_DEP_2)
	v_fma_f32 v2, 0xbfc90fda, v6, |v0|
	v_cvt_i32_f32_e32 v4, v6
	v_fmac_f32_e32 v2, 0xb3a22168, v6
	s_delay_alu instid0(VALU_DEP_1)
	v_fmac_f32_e32 v2, 0xa7c234c4, v6
; %bb.6:                                ;   in Loop: Header=BB2_2 Depth=1
	s_or_b32 exec_lo, exec_lo, s3
                                        ; implicit-def: $vgpr8
                                        ; implicit-def: $vgpr5
	s_and_saveexec_b32 s3, s14
	s_delay_alu instid0(SALU_CYCLE_1)
	s_xor_b32 s14, exec_lo, s3
	s_cbranch_execz .LBB2_8
; %bb.7:                                ;   in Loop: Header=BB2_2 Depth=1
	v_mul_u64_e32 v[6:7], s[8:9], v[14:15]
	v_mov_b32_e32 v9, v15
	v_cmp_lt_u32_e32 vcc_lo, 63, v3
	v_mov_b32_e32 v23, v15
	v_cndmask_b32_e64 v5, 0, 0xffffffc0, vcc_lo
	s_delay_alu instid0(VALU_DEP_1) | instskip(NEXT) | instid1(VALU_DEP_1)
	v_add_nc_u32_e32 v3, v5, v3
	v_cmp_lt_u32_e64 s3, 31, v3
	s_delay_alu instid0(VALU_DEP_1) | instskip(SKIP_1) | instid1(VALU_DEP_1)
	v_cndmask_b32_e64 v5, 0, 0xffffffe0, s3
	v_mov_b32_e32 v8, v7
	v_mad_nc_u64_u32 v[8:9], 0x3c439041, v14, v[8:9]
	s_delay_alu instid0(VALU_DEP_1) | instskip(NEXT) | instid1(VALU_DEP_1)
	v_dual_mov_b32 v11, v15 :: v_dual_mov_b32 v10, v9
	v_mad_nc_u64_u32 v[10:11], 0xdb629599, v14, v[10:11]
	s_delay_alu instid0(VALU_DEP_1) | instskip(NEXT) | instid1(VALU_DEP_1)
	v_dual_mov_b32 v17, v15 :: v_dual_mov_b32 v16, v11
	v_mad_nc_u64_u32 v[16:17], 0xf534ddc0, v14, v[16:17]
	s_delay_alu instid0(VALU_DEP_1) | instskip(NEXT) | instid1(VALU_DEP_1)
	v_dual_mov_b32 v19, v15 :: v_dual_mov_b32 v18, v17
	v_mad_nc_u64_u32 v[18:19], 0xfc2757d1, v14, v[18:19]
	s_delay_alu instid0(VALU_DEP_1) | instskip(NEXT) | instid1(VALU_DEP_1)
	v_dual_mov_b32 v21, v15 :: v_dual_mov_b32 v20, v19
	v_mad_nc_u64_u32 v[20:21], 0x4e441529, v14, v[20:21]
	s_delay_alu instid0(VALU_DEP_1) | instskip(NEXT) | instid1(VALU_DEP_1)
	v_dual_mov_b32 v22, v21 :: v_dual_cndmask_b32 v7, v20, v16
	v_mad_nc_u64_u32 v[22:23], 0xa2f9836e, v14, v[22:23]
	v_dual_cndmask_b32 v14, v18, v10 :: v_dual_add_nc_u32 v3, v5, v3
	s_delay_alu instid0(VALU_DEP_2) | instskip(NEXT) | instid1(VALU_DEP_2)
	v_dual_cndmask_b32 v11, v23, v20, vcc_lo :: v_dual_cndmask_b32 v9, v22, v18, vcc_lo
	v_cmp_lt_u32_e64 s4, 31, v3
	s_delay_alu instid0(VALU_DEP_1) | instskip(NEXT) | instid1(VALU_DEP_1)
	v_cndmask_b32_e64 v5, 0, 0xffffffe0, s4
	v_dual_add_nc_u32 v3, v5, v3 :: v_dual_cndmask_b32 v5, v16, v8, vcc_lo
	s_delay_alu instid0(VALU_DEP_4) | instskip(NEXT) | instid1(VALU_DEP_2)
	v_dual_cndmask_b32 v8, v9, v7, s3 :: v_dual_cndmask_b32 v9, v11, v9, s3
	v_dual_cndmask_b32 v7, v7, v14, s3 :: v_dual_sub_nc_u32 v11, 32, v3
	s_delay_alu instid0(VALU_DEP_2) | instskip(NEXT) | instid1(VALU_DEP_1)
	v_dual_cndmask_b32 v14, v14, v5, s3 :: v_dual_cndmask_b32 v9, v9, v8, s4
	v_dual_cndmask_b32 v8, v8, v7, s4 :: v_dual_cndmask_b32 v7, v7, v14, s4
	s_delay_alu instid0(VALU_DEP_1) | instskip(SKIP_2) | instid1(VALU_DEP_4)
	v_alignbit_b32 v16, v9, v8, v11
	v_cndmask_b32_e32 v6, v10, v6, vcc_lo
	v_cmp_eq_u32_e32 vcc_lo, 0, v3
	v_alignbit_b32 v10, v8, v7, v11
	s_delay_alu instid0(VALU_DEP_3) | instskip(NEXT) | instid1(VALU_DEP_2)
	v_dual_cndmask_b32 v3, v16, v9, vcc_lo :: v_dual_cndmask_b32 v5, v5, v6, s3
	v_cndmask_b32_e32 v6, v10, v8, vcc_lo
	s_delay_alu instid0(VALU_DEP_2) | instskip(NEXT) | instid1(VALU_DEP_3)
	v_bfe_u32 v8, v3, 29, 1
	v_cndmask_b32_e64 v5, v14, v5, s4
	s_delay_alu instid0(VALU_DEP_3) | instskip(NEXT) | instid1(VALU_DEP_3)
	v_alignbit_b32 v9, v3, v6, 30
	v_sub_nc_u32_e32 v10, 0, v8
	s_delay_alu instid0(VALU_DEP_3) | instskip(NEXT) | instid1(VALU_DEP_1)
	v_alignbit_b32 v11, v7, v5, v11
	v_dual_cndmask_b32 v7, v11, v7, vcc_lo :: v_dual_bitop2_b32 v9, v9, v10 bitop3:0x14
	s_delay_alu instid0(VALU_DEP_1) | instskip(NEXT) | instid1(VALU_DEP_2)
	v_clz_i32_u32_e32 v11, v9
	v_alignbit_b32 v6, v6, v7, 30
	v_alignbit_b32 v5, v7, v5, 30
	s_delay_alu instid0(VALU_DEP_3) | instskip(NEXT) | instid1(VALU_DEP_3)
	v_min_u32_e32 v11, 32, v11
	v_xor_b32_e32 v6, v6, v10
	s_delay_alu instid0(VALU_DEP_3) | instskip(SKIP_1) | instid1(VALU_DEP_4)
	v_dual_lshrrev_b32 v10, 29, v3 :: v_dual_bitop2_b32 v5, v5, v10 bitop3:0x14
	v_lshrrev_b32_e32 v3, 30, v3
	v_dual_sub_nc_u32 v7, 31, v11 :: v_dual_lshlrev_b32 v14, 23, v11
	s_delay_alu instid0(VALU_DEP_2) | instskip(NEXT) | instid1(VALU_DEP_2)
	v_add_nc_u32_e32 v8, v8, v3
	v_alignbit_b32 v9, v9, v6, v7
	v_alignbit_b32 v5, v6, v5, v7
	v_lshlrev_b32_e32 v6, 31, v10
	s_delay_alu instid0(VALU_DEP_2) | instskip(NEXT) | instid1(VALU_DEP_2)
	v_alignbit_b32 v7, v9, v5, 9
	v_dual_lshrrev_b32 v9, 9, v9 :: v_dual_bitop2_b32 v10, 0.5, v6 bitop3:0x54
	v_or_b32_e32 v6, 0x33000000, v6
	s_delay_alu instid0(VALU_DEP_3) | instskip(NEXT) | instid1(VALU_DEP_3)
	v_clz_i32_u32_e32 v16, v7
	v_sub_nc_u32_e32 v10, v10, v14
	s_delay_alu instid0(VALU_DEP_2) | instskip(NEXT) | instid1(VALU_DEP_1)
	v_min_u32_e32 v14, 32, v16
	v_add_lshl_u32 v11, v14, v11, 23
	s_delay_alu instid0(VALU_DEP_3) | instskip(SKIP_1) | instid1(VALU_DEP_3)
	v_or_b32_e32 v9, v9, v10
	v_not_b32_e32 v10, v14
	v_sub_nc_u32_e32 v6, v6, v11
	s_delay_alu instid0(VALU_DEP_3) | instskip(NEXT) | instid1(VALU_DEP_3)
	v_mul_f32_e32 v16, 0x3fc90fda, v9
	v_alignbit_b32 v5, v7, v5, v10
	s_delay_alu instid0(VALU_DEP_2) | instskip(NEXT) | instid1(VALU_DEP_2)
	v_fma_f32 v7, 0x3fc90fda, v9, -v16
	v_lshrrev_b32_e32 v5, 9, v5
	s_delay_alu instid0(VALU_DEP_2) | instskip(NEXT) | instid1(VALU_DEP_2)
	v_fmac_f32_e32 v7, 0x33a22168, v9
	v_or_b32_e32 v5, v6, v5
                                        ; implicit-def: $vgpr6
	s_delay_alu instid0(VALU_DEP_1) | instskip(NEXT) | instid1(VALU_DEP_1)
	v_fmac_f32_e32 v7, 0x3fc90fda, v5
	v_add_f32_e32 v5, v16, v7
	s_and_not1_saveexec_b32 s3, s14
	s_cbranch_execnz .LBB2_9
	s_branch .LBB2_10
.LBB2_8:                                ;   in Loop: Header=BB2_2 Depth=1
	s_and_not1_saveexec_b32 s3, s14
.LBB2_9:                                ;   in Loop: Header=BB2_2 Depth=1
	v_fma_f32 v5, 0xbfc90fda, v6, |v0|
	v_cvt_i32_f32_e32 v8, v6
	s_delay_alu instid0(VALU_DEP_2) | instskip(NEXT) | instid1(VALU_DEP_1)
	v_fmac_f32_e32 v5, 0xb3a22168, v6
	v_fmac_f32_e32 v5, 0xa7c234c4, v6
.LBB2_10:                               ;   in Loop: Header=BB2_2 Depth=1
	s_or_b32 exec_lo, exec_lo, s3
	v_add_nc_u64_e32 v[6:7], s[22:23], v[12:13]
                                        ; implicit-def: $vgpr16
                                        ; implicit-def: $vgpr10
	global_load_b32 v6, v[6:7], off
	s_wait_loadcnt 0x0
	v_and_b32_e32 v9, 0x7fffffff, v6
	v_cmp_ngt_f32_e64 s14, 0x48000000, |v6|
	s_delay_alu instid0(VALU_DEP_2) | instskip(SKIP_1) | instid1(VALU_DEP_2)
	v_lshrrev_b32_e32 v3, 23, v9
	v_and_or_b32 v14, v9, s10, 0x800000
	v_add_nc_u32_e32 v3, 0xffffff88, v3
	s_wait_xcnt 0x0
	s_and_saveexec_b32 s3, s14
	s_delay_alu instid0(SALU_CYCLE_1)
	s_xor_b32 s15, exec_lo, s3
	s_cbranch_execz .LBB2_12
; %bb.11:                               ;   in Loop: Header=BB2_2 Depth=1
	v_mul_u64_e32 v[10:11], s[8:9], v[14:15]
	v_mov_b32_e32 v17, v15
	v_cmp_lt_u32_e32 vcc_lo, 63, v3
	v_cndmask_b32_e64 v7, 0, 0xffffffc0, vcc_lo
	s_delay_alu instid0(VALU_DEP_4) | instskip(NEXT) | instid1(VALU_DEP_1)
	v_mov_b32_e32 v16, v11
	v_mad_nc_u64_u32 v[16:17], 0x3c439041, v14, v[16:17]
	s_delay_alu instid0(VALU_DEP_1) | instskip(NEXT) | instid1(VALU_DEP_1)
	v_dual_mov_b32 v19, v15 :: v_dual_mov_b32 v18, v17
	v_mad_nc_u64_u32 v[18:19], 0xdb629599, v14, v[18:19]
	s_delay_alu instid0(VALU_DEP_1) | instskip(NEXT) | instid1(VALU_DEP_2)
	v_dual_mov_b32 v21, v15 :: v_dual_mov_b32 v20, v19
	v_cndmask_b32_e32 v10, v18, v10, vcc_lo
	s_delay_alu instid0(VALU_DEP_2) | instskip(NEXT) | instid1(VALU_DEP_1)
	v_mad_nc_u64_u32 v[20:21], 0xf534ddc0, v14, v[20:21]
	v_dual_mov_b32 v23, v15 :: v_dual_mov_b32 v22, v21
	s_delay_alu instid0(VALU_DEP_1) | instskip(NEXT) | instid1(VALU_DEP_1)
	v_mad_nc_u64_u32 v[22:23], 0xfc2757d1, v14, v[22:23]
	v_dual_mov_b32 v25, v15 :: v_dual_mov_b32 v24, v23
	s_delay_alu instid0(VALU_DEP_1) | instskip(SKIP_1) | instid1(VALU_DEP_2)
	v_mad_nc_u64_u32 v[24:25], 0x4e441529, v14, v[24:25]
	v_add_nc_u32_e32 v7, v7, v3
	v_dual_mov_b32 v27, v15 :: v_dual_cndmask_b32 v17, v24, v20, vcc_lo
	s_delay_alu instid0(VALU_DEP_3) | instskip(NEXT) | instid1(VALU_DEP_3)
	v_mov_b32_e32 v26, v25
	v_cmp_lt_u32_e64 s3, 31, v7
	s_delay_alu instid0(VALU_DEP_2) | instskip(NEXT) | instid1(VALU_DEP_2)
	v_mad_nc_u64_u32 v[26:27], 0xa2f9836e, v14, v[26:27]
	v_cndmask_b32_e64 v11, 0, 0xffffffe0, s3
	s_delay_alu instid0(VALU_DEP_1) | instskip(NEXT) | instid1(VALU_DEP_1)
	v_dual_add_nc_u32 v7, v11, v7 :: v_dual_cndmask_b32 v19, v26, v22, vcc_lo
	v_cmp_lt_u32_e64 s4, 31, v7
	s_delay_alu instid0(VALU_DEP_4) | instskip(NEXT) | instid1(VALU_DEP_2)
	v_dual_cndmask_b32 v21, v27, v24 :: v_dual_cndmask_b32 v22, v22, v18
	v_cndmask_b32_e64 v11, 0, 0xffffffe0, s4
	s_delay_alu instid0(VALU_DEP_1) | instskip(NEXT) | instid1(VALU_DEP_3)
	v_dual_add_nc_u32 v7, v11, v7 :: v_dual_cndmask_b32 v11, v20, v16, vcc_lo
	v_dual_cndmask_b32 v16, v19, v17, s3 :: v_dual_cndmask_b32 v19, v21, v19, s3
	s_delay_alu instid0(VALU_DEP_2) | instskip(NEXT) | instid1(VALU_DEP_3)
	v_dual_cndmask_b32 v17, v17, v22, s3 :: v_dual_sub_nc_u32 v20, 32, v7
	v_cndmask_b32_e64 v21, v22, v11, s3
	v_cmp_eq_u32_e32 vcc_lo, 0, v7
	s_delay_alu instid0(VALU_DEP_3) | instskip(NEXT) | instid1(VALU_DEP_1)
	v_dual_cndmask_b32 v19, v19, v16, s4 :: v_dual_cndmask_b32 v16, v16, v17, s4
	v_alignbit_b32 v22, v19, v16, v20
	s_delay_alu instid0(VALU_DEP_1) | instskip(NEXT) | instid1(VALU_DEP_1)
	v_dual_cndmask_b32 v17, v17, v21, s4 :: v_dual_cndmask_b32 v7, v22, v19, vcc_lo
	v_alignbit_b32 v18, v16, v17, v20
	s_delay_alu instid0(VALU_DEP_1) | instskip(NEXT) | instid1(VALU_DEP_3)
	v_dual_cndmask_b32 v10, v11, v10, s3 :: v_dual_cndmask_b32 v11, v18, v16, vcc_lo
	v_bfe_u32 v16, v7, 29, 1
	s_delay_alu instid0(VALU_DEP_2) | instskip(NEXT) | instid1(VALU_DEP_3)
	v_cndmask_b32_e64 v10, v21, v10, s4
	v_alignbit_b32 v18, v7, v11, 30
	s_delay_alu instid0(VALU_DEP_3) | instskip(NEXT) | instid1(VALU_DEP_3)
	v_sub_nc_u32_e32 v19, 0, v16
	v_alignbit_b32 v20, v17, v10, v20
	s_delay_alu instid0(VALU_DEP_1) | instskip(NEXT) | instid1(VALU_DEP_1)
	v_dual_cndmask_b32 v17, v20, v17, vcc_lo :: v_dual_bitop2_b32 v18, v18, v19 bitop3:0x14
	v_clz_i32_u32_e32 v20, v18
	s_delay_alu instid0(VALU_DEP_2) | instskip(SKIP_1) | instid1(VALU_DEP_3)
	v_alignbit_b32 v11, v11, v17, 30
	v_alignbit_b32 v10, v17, v10, 30
	v_min_u32_e32 v20, 32, v20
	s_delay_alu instid0(VALU_DEP_3) | instskip(NEXT) | instid1(VALU_DEP_3)
	v_xor_b32_e32 v11, v11, v19
	v_xor_b32_e32 v10, v10, v19
	v_dual_lshrrev_b32 v19, 29, v7 :: v_dual_lshrrev_b32 v7, 30, v7
	s_delay_alu instid0(VALU_DEP_4) | instskip(NEXT) | instid1(VALU_DEP_2)
	v_dual_sub_nc_u32 v17, 31, v20 :: v_dual_lshlrev_b32 v21, 23, v20
	v_add_nc_u32_e32 v16, v16, v7
	s_delay_alu instid0(VALU_DEP_2) | instskip(SKIP_2) | instid1(VALU_DEP_2)
	v_alignbit_b32 v18, v18, v11, v17
	v_alignbit_b32 v10, v11, v10, v17
	v_lshlrev_b32_e32 v11, 31, v19
	v_alignbit_b32 v17, v18, v10, 9
	s_delay_alu instid0(VALU_DEP_2) | instskip(SKIP_1) | instid1(VALU_DEP_3)
	v_dual_lshrrev_b32 v18, 9, v18 :: v_dual_bitop2_b32 v19, 0.5, v11 bitop3:0x54
	v_or_b32_e32 v11, 0x33000000, v11
	v_clz_i32_u32_e32 v22, v17
	s_delay_alu instid0(VALU_DEP_3) | instskip(NEXT) | instid1(VALU_DEP_2)
	v_sub_nc_u32_e32 v19, v19, v21
	v_min_u32_e32 v21, 32, v22
	s_delay_alu instid0(VALU_DEP_1) | instskip(NEXT) | instid1(VALU_DEP_3)
	v_add_lshl_u32 v20, v21, v20, 23
	v_or_b32_e32 v18, v18, v19
	v_not_b32_e32 v19, v21
	s_delay_alu instid0(VALU_DEP_2) | instskip(NEXT) | instid1(VALU_DEP_2)
	v_dual_mul_f32 v22, 0x3fc90fda, v18 :: v_dual_sub_nc_u32 v11, v11, v20
	v_alignbit_b32 v10, v17, v10, v19
	s_delay_alu instid0(VALU_DEP_2) | instskip(NEXT) | instid1(VALU_DEP_2)
	v_fma_f32 v17, 0x3fc90fda, v18, -v22
	v_lshrrev_b32_e32 v10, 9, v10
	s_delay_alu instid0(VALU_DEP_2) | instskip(NEXT) | instid1(VALU_DEP_2)
	v_fmac_f32_e32 v17, 0x33a22168, v18
	v_or_b32_e32 v10, v11, v10
	s_delay_alu instid0(VALU_DEP_1) | instskip(NEXT) | instid1(VALU_DEP_1)
	v_fmac_f32_e32 v17, 0x3fc90fda, v10
	v_add_f32_e32 v10, v22, v17
.LBB2_12:                               ;   in Loop: Header=BB2_2 Depth=1
	s_or_saveexec_b32 s3, s15
	v_mul_f32_e64 v7, 0x3f22f983, |v6|
	s_delay_alu instid0(VALU_DEP_1)
	v_rndne_f32_e32 v7, v7
	s_xor_b32 exec_lo, exec_lo, s3
; %bb.13:                               ;   in Loop: Header=BB2_2 Depth=1
	s_delay_alu instid0(VALU_DEP_1) | instskip(SKIP_1) | instid1(VALU_DEP_2)
	v_fma_f32 v10, 0xbfc90fda, v7, |v6|
	v_cvt_i32_f32_e32 v16, v7
	v_fmac_f32_e32 v10, 0xb3a22168, v7
	s_delay_alu instid0(VALU_DEP_1)
	v_fmac_f32_e32 v10, 0xa7c234c4, v7
; %bb.14:                               ;   in Loop: Header=BB2_2 Depth=1
	s_or_b32 exec_lo, exec_lo, s3
                                        ; implicit-def: $vgpr19
                                        ; implicit-def: $vgpr17
	s_and_saveexec_b32 s3, s14
	s_delay_alu instid0(SALU_CYCLE_1)
	s_xor_b32 s14, exec_lo, s3
	s_cbranch_execz .LBB2_16
; %bb.15:                               ;   in Loop: Header=BB2_2 Depth=1
	v_mul_u64_e32 v[18:19], s[8:9], v[14:15]
	v_mov_b32_e32 v21, v15
	v_cmp_lt_u32_e32 vcc_lo, 63, v3
	v_cndmask_b32_e64 v7, 0, 0xffffffc0, vcc_lo
	s_delay_alu instid0(VALU_DEP_4) | instskip(NEXT) | instid1(VALU_DEP_1)
	v_mov_b32_e32 v20, v19
	v_mad_nc_u64_u32 v[20:21], 0x3c439041, v14, v[20:21]
	s_delay_alu instid0(VALU_DEP_1) | instskip(NEXT) | instid1(VALU_DEP_1)
	v_dual_mov_b32 v23, v15 :: v_dual_mov_b32 v22, v21
	v_mad_nc_u64_u32 v[22:23], 0xdb629599, v14, v[22:23]
	s_delay_alu instid0(VALU_DEP_1) | instskip(NEXT) | instid1(VALU_DEP_2)
	v_dual_mov_b32 v25, v15 :: v_dual_mov_b32 v24, v23
	v_cndmask_b32_e32 v18, v22, v18, vcc_lo
	s_delay_alu instid0(VALU_DEP_2) | instskip(NEXT) | instid1(VALU_DEP_1)
	v_mad_nc_u64_u32 v[24:25], 0xf534ddc0, v14, v[24:25]
	v_dual_mov_b32 v27, v15 :: v_dual_mov_b32 v26, v25
	s_delay_alu instid0(VALU_DEP_1) | instskip(NEXT) | instid1(VALU_DEP_1)
	v_mad_nc_u64_u32 v[26:27], 0xfc2757d1, v14, v[26:27]
	v_dual_mov_b32 v29, v15 :: v_dual_mov_b32 v28, v27
	s_delay_alu instid0(VALU_DEP_2) | instskip(NEXT) | instid1(VALU_DEP_2)
	v_cndmask_b32_e32 v19, v26, v22, vcc_lo
	v_mad_nc_u64_u32 v[28:29], 0x4e441529, v14, v[28:29]
	v_add_nc_u32_e32 v3, v7, v3
	s_delay_alu instid0(VALU_DEP_2) | instskip(NEXT) | instid1(VALU_DEP_3)
	v_dual_mov_b32 v31, v15 :: v_dual_cndmask_b32 v11, v28, v24, vcc_lo
	v_mov_b32_e32 v30, v29
	s_delay_alu instid0(VALU_DEP_3) | instskip(NEXT) | instid1(VALU_DEP_2)
	v_cmp_lt_u32_e64 s3, 31, v3
	v_mad_nc_u64_u32 v[30:31], 0xa2f9836e, v14, v[30:31]
	s_delay_alu instid0(VALU_DEP_2) | instskip(NEXT) | instid1(VALU_DEP_1)
	v_cndmask_b32_e64 v7, 0, 0xffffffe0, s3
	v_dual_cndmask_b32 v14, v30, v26 :: v_dual_add_nc_u32 v3, v7, v3
	s_delay_alu instid0(VALU_DEP_1) | instskip(NEXT) | instid1(VALU_DEP_4)
	v_cmp_lt_u32_e64 s4, 31, v3
	v_cndmask_b32_e32 v17, v31, v28, vcc_lo
	s_delay_alu instid0(VALU_DEP_2) | instskip(NEXT) | instid1(VALU_DEP_1)
	v_cndmask_b32_e64 v7, 0, 0xffffffe0, s4
	v_dual_add_nc_u32 v3, v7, v3 :: v_dual_cndmask_b32 v7, v24, v20, vcc_lo
	s_delay_alu instid0(VALU_DEP_3) | instskip(SKIP_1) | instid1(VALU_DEP_3)
	v_dual_cndmask_b32 v20, v14, v11, s3 :: v_dual_cndmask_b32 v14, v17, v14, s3
	v_cndmask_b32_e64 v11, v11, v19, s3
	v_sub_nc_u32_e32 v17, 32, v3
	v_cmp_eq_u32_e32 vcc_lo, 0, v3
	s_delay_alu instid0(VALU_DEP_3) | instskip(NEXT) | instid1(VALU_DEP_1)
	v_dual_cndmask_b32 v14, v14, v20, s4 :: v_dual_cndmask_b32 v20, v20, v11, s4
	v_alignbit_b32 v21, v14, v20, v17
	v_cndmask_b32_e64 v19, v19, v7, s3
	v_cndmask_b32_e64 v7, v7, v18, s3
	s_delay_alu instid0(VALU_DEP_2) | instskip(NEXT) | instid1(VALU_DEP_1)
	v_dual_cndmask_b32 v3, v21, v14, vcc_lo :: v_dual_cndmask_b32 v11, v11, v19, s4
	v_bfe_u32 v18, v3, 29, 1
	s_delay_alu instid0(VALU_DEP_2) | instskip(NEXT) | instid1(VALU_DEP_1)
	v_alignbit_b32 v22, v20, v11, v17
	v_dual_cndmask_b32 v7, v19, v7, s4 :: v_dual_cndmask_b32 v14, v22, v20, vcc_lo
	s_delay_alu instid0(VALU_DEP_3) | instskip(NEXT) | instid1(VALU_DEP_2)
	v_sub_nc_u32_e32 v20, 0, v18
	v_alignbit_b32 v17, v11, v7, v17
	s_delay_alu instid0(VALU_DEP_3) | instskip(NEXT) | instid1(VALU_DEP_1)
	v_alignbit_b32 v19, v3, v14, 30
	v_dual_cndmask_b32 v11, v17, v11, vcc_lo :: v_dual_bitop2_b32 v19, v19, v20 bitop3:0x14
	s_delay_alu instid0(VALU_DEP_1) | instskip(SKIP_1) | instid1(VALU_DEP_3)
	v_alignbit_b32 v14, v14, v11, 30
	v_alignbit_b32 v7, v11, v7, 30
	v_clz_i32_u32_e32 v17, v19
	s_delay_alu instid0(VALU_DEP_2) | instskip(NEXT) | instid1(VALU_DEP_2)
	v_xor_b32_e32 v7, v7, v20
	v_min_u32_e32 v17, 32, v17
	v_dual_lshrrev_b32 v20, 29, v3 :: v_dual_bitop2_b32 v11, v14, v20 bitop3:0x14
	s_delay_alu instid0(VALU_DEP_2) | instskip(SKIP_1) | instid1(VALU_DEP_2)
	v_dual_lshrrev_b32 v3, 30, v3 :: v_dual_sub_nc_u32 v14, 31, v17
	v_lshlrev_b32_e32 v21, 23, v17
	v_alignbit_b32 v19, v19, v11, v14
	v_alignbit_b32 v7, v11, v7, v14
	v_lshlrev_b32_e32 v11, 31, v20
	s_delay_alu instid0(VALU_DEP_2) | instskip(NEXT) | instid1(VALU_DEP_2)
	v_alignbit_b32 v14, v19, v7, 9
	v_or_b32_e32 v20, 0.5, v11
	v_lshrrev_b32_e32 v19, 9, v19
	v_or_b32_e32 v11, 0x33000000, v11
	s_delay_alu instid0(VALU_DEP_4) | instskip(NEXT) | instid1(VALU_DEP_4)
	v_clz_i32_u32_e32 v22, v14
	v_sub_nc_u32_e32 v20, v20, v21
	s_delay_alu instid0(VALU_DEP_2) | instskip(NEXT) | instid1(VALU_DEP_2)
	v_min_u32_e32 v21, 32, v22
	v_or_b32_e32 v19, v19, v20
	s_delay_alu instid0(VALU_DEP_2) | instskip(SKIP_1) | instid1(VALU_DEP_2)
	v_not_b32_e32 v20, v21
	v_add_lshl_u32 v17, v21, v17, 23
	v_alignbit_b32 v7, v14, v7, v20
	s_delay_alu instid0(VALU_DEP_1) | instskip(SKIP_1) | instid1(VALU_DEP_2)
	v_dual_sub_nc_u32 v11, v11, v17 :: v_dual_lshrrev_b32 v7, 9, v7
	v_mul_f32_e32 v22, 0x3fc90fda, v19
	v_or_b32_e32 v7, v11, v7
	s_delay_alu instid0(VALU_DEP_2) | instskip(NEXT) | instid1(VALU_DEP_1)
	v_fma_f32 v14, 0x3fc90fda, v19, -v22
	v_fmac_f32_e32 v14, 0x33a22168, v19
	v_add_nc_u32_e32 v19, v18, v3
	s_delay_alu instid0(VALU_DEP_2) | instskip(NEXT) | instid1(VALU_DEP_1)
	v_fmac_f32_e32 v14, 0x3fc90fda, v7
                                        ; implicit-def: $vgpr7
	v_add_f32_e32 v17, v22, v14
	s_and_not1_saveexec_b32 s3, s14
	s_cbranch_execnz .LBB2_17
	s_branch .LBB2_18
.LBB2_16:                               ;   in Loop: Header=BB2_2 Depth=1
	s_and_not1_saveexec_b32 s3, s14
.LBB2_17:                               ;   in Loop: Header=BB2_2 Depth=1
	v_fma_f32 v17, 0xbfc90fda, v7, |v6|
	v_cvt_i32_f32_e32 v19, v7
	s_delay_alu instid0(VALU_DEP_2) | instskip(NEXT) | instid1(VALU_DEP_1)
	v_fmac_f32_e32 v17, 0xb3a22168, v7
	v_fmac_f32_e32 v17, 0xa7c234c4, v7
.LBB2_18:                               ;   in Loop: Header=BB2_2 Depth=1
	s_or_b32 exec_lo, exec_lo, s3
	v_add_nc_u64_e32 v[20:21], s[24:25], v[12:13]
                                        ; implicit-def: $vgpr22
	global_load_b32 v18, v[20:21], off
                                        ; implicit-def: $vgpr21
	s_wait_loadcnt 0x0
	s_wait_xcnt 0x0
	v_and_b32_e32 v20, 0x7fffffff, v18
	v_cmp_ngt_f32_e64 s14, 0x48000000, |v18|
	s_delay_alu instid0(VALU_DEP_2) | instskip(SKIP_1) | instid1(VALU_DEP_2)
	v_lshrrev_b32_e32 v3, 23, v20
	v_and_or_b32 v14, v20, s10, 0x800000
	v_add_nc_u32_e32 v3, 0xffffff88, v3
	s_and_saveexec_b32 s3, s14
	s_delay_alu instid0(SALU_CYCLE_1)
	s_xor_b32 s15, exec_lo, s3
	s_cbranch_execz .LBB2_20
; %bb.19:                               ;   in Loop: Header=BB2_2 Depth=1
	v_mul_u64_e32 v[22:23], s[8:9], v[14:15]
	v_mov_b32_e32 v25, v15
	v_cmp_lt_u32_e32 vcc_lo, 63, v3
	v_cndmask_b32_e64 v7, 0, 0xffffffc0, vcc_lo
	s_delay_alu instid0(VALU_DEP_4) | instskip(NEXT) | instid1(VALU_DEP_1)
	v_mov_b32_e32 v24, v23
	v_mad_nc_u64_u32 v[24:25], 0x3c439041, v14, v[24:25]
	s_delay_alu instid0(VALU_DEP_1) | instskip(NEXT) | instid1(VALU_DEP_1)
	v_dual_mov_b32 v27, v15 :: v_dual_mov_b32 v26, v25
	v_mad_nc_u64_u32 v[26:27], 0xdb629599, v14, v[26:27]
	s_delay_alu instid0(VALU_DEP_1) | instskip(NEXT) | instid1(VALU_DEP_2)
	v_dual_mov_b32 v29, v15 :: v_dual_mov_b32 v28, v27
	v_cndmask_b32_e32 v22, v26, v22, vcc_lo
	s_delay_alu instid0(VALU_DEP_2) | instskip(NEXT) | instid1(VALU_DEP_1)
	v_mad_nc_u64_u32 v[28:29], 0xf534ddc0, v14, v[28:29]
	v_dual_mov_b32 v31, v15 :: v_dual_mov_b32 v30, v29
	s_delay_alu instid0(VALU_DEP_1) | instskip(NEXT) | instid1(VALU_DEP_1)
	v_mad_nc_u64_u32 v[30:31], 0xfc2757d1, v14, v[30:31]
	v_dual_mov_b32 v33, v15 :: v_dual_mov_b32 v32, v31
	s_delay_alu instid0(VALU_DEP_2) | instskip(NEXT) | instid1(VALU_DEP_2)
	v_cndmask_b32_e32 v27, v30, v26, vcc_lo
	v_mad_nc_u64_u32 v[32:33], 0x4e441529, v14, v[32:33]
	v_add_nc_u32_e32 v7, v7, v3
	s_delay_alu instid0(VALU_DEP_2) | instskip(NEXT) | instid1(VALU_DEP_3)
	v_dual_mov_b32 v35, v15 :: v_dual_cndmask_b32 v21, v32, v28, vcc_lo
	v_mov_b32_e32 v34, v33
	s_delay_alu instid0(VALU_DEP_3) | instskip(NEXT) | instid1(VALU_DEP_2)
	v_cmp_lt_u32_e64 s3, 31, v7
	v_mad_nc_u64_u32 v[34:35], 0xa2f9836e, v14, v[34:35]
	s_delay_alu instid0(VALU_DEP_2) | instskip(NEXT) | instid1(VALU_DEP_1)
	v_cndmask_b32_e64 v11, 0, 0xffffffe0, s3
	v_dual_add_nc_u32 v7, v11, v7 :: v_dual_cndmask_b32 v23, v34, v30, vcc_lo
	s_delay_alu instid0(VALU_DEP_1) | instskip(NEXT) | instid1(VALU_DEP_4)
	v_cmp_lt_u32_e64 s4, 31, v7
	v_cndmask_b32_e32 v25, v35, v32, vcc_lo
	s_delay_alu instid0(VALU_DEP_2) | instskip(NEXT) | instid1(VALU_DEP_1)
	v_cndmask_b32_e64 v11, 0, 0xffffffe0, s4
	v_dual_add_nc_u32 v7, v11, v7 :: v_dual_cndmask_b32 v11, v28, v24, vcc_lo
	s_delay_alu instid0(VALU_DEP_3) | instskip(SKIP_1) | instid1(VALU_DEP_3)
	v_dual_cndmask_b32 v24, v23, v21, s3 :: v_dual_cndmask_b32 v23, v25, v23, s3
	v_cndmask_b32_e64 v21, v21, v27, s3
	v_sub_nc_u32_e32 v25, 32, v7
	s_delay_alu instid0(VALU_DEP_4) | instskip(SKIP_1) | instid1(VALU_DEP_4)
	v_cndmask_b32_e64 v27, v27, v11, s3
	v_cmp_eq_u32_e32 vcc_lo, 0, v7
	v_dual_cndmask_b32 v23, v23, v24, s4 :: v_dual_cndmask_b32 v24, v24, v21, s4
	s_delay_alu instid0(VALU_DEP_3) | instskip(NEXT) | instid1(VALU_DEP_2)
	v_dual_cndmask_b32 v11, v11, v22, s3 :: v_dual_cndmask_b32 v21, v21, v27, s4
	v_alignbit_b32 v28, v23, v24, v25
	s_delay_alu instid0(VALU_DEP_2) | instskip(NEXT) | instid1(VALU_DEP_1)
	v_alignbit_b32 v26, v24, v21, v25
	v_dual_cndmask_b32 v7, v28, v23 :: v_dual_cndmask_b32 v22, v26, v24
	s_delay_alu instid0(VALU_DEP_1) | instskip(NEXT) | instid1(VALU_DEP_2)
	v_bfe_u32 v23, v7, 29, 1
	v_alignbit_b32 v24, v7, v22, 30
	s_delay_alu instid0(VALU_DEP_2) | instskip(NEXT) | instid1(VALU_DEP_1)
	v_sub_nc_u32_e32 v26, 0, v23
	v_dual_cndmask_b32 v11, v27, v11, s4 :: v_dual_bitop2_b32 v24, v24, v26 bitop3:0x14
	s_delay_alu instid0(VALU_DEP_1) | instskip(NEXT) | instid1(VALU_DEP_1)
	v_alignbit_b32 v25, v21, v11, v25
	v_cndmask_b32_e32 v21, v25, v21, vcc_lo
	s_delay_alu instid0(VALU_DEP_3) | instskip(NEXT) | instid1(VALU_DEP_2)
	v_clz_i32_u32_e32 v25, v24
	v_alignbit_b32 v22, v22, v21, 30
	s_delay_alu instid0(VALU_DEP_2) | instskip(SKIP_1) | instid1(VALU_DEP_2)
	v_min_u32_e32 v25, 32, v25
	v_alignbit_b32 v11, v21, v11, 30
	v_dual_sub_nc_u32 v22, 31, v25 :: v_dual_bitop2_b32 v21, v22, v26 bitop3:0x14
	s_delay_alu instid0(VALU_DEP_2) | instskip(SKIP_1) | instid1(VALU_DEP_3)
	v_dual_lshrrev_b32 v26, 29, v7 :: v_dual_bitop2_b32 v11, v11, v26 bitop3:0x14
	v_dual_lshlrev_b32 v27, 23, v25 :: v_dual_lshrrev_b32 v7, 30, v7
	v_alignbit_b32 v24, v24, v21, v22
	s_delay_alu instid0(VALU_DEP_3) | instskip(NEXT) | instid1(VALU_DEP_4)
	v_alignbit_b32 v11, v21, v11, v22
	v_lshlrev_b32_e32 v21, 31, v26
	s_delay_alu instid0(VALU_DEP_2) | instskip(NEXT) | instid1(VALU_DEP_2)
	v_alignbit_b32 v22, v24, v11, 9
	v_dual_lshrrev_b32 v24, 9, v24 :: v_dual_bitop2_b32 v26, 0.5, v21 bitop3:0x54
	v_or_b32_e32 v21, 0x33000000, v21
	s_delay_alu instid0(VALU_DEP_3) | instskip(NEXT) | instid1(VALU_DEP_3)
	v_clz_i32_u32_e32 v28, v22
	v_sub_nc_u32_e32 v26, v26, v27
	s_delay_alu instid0(VALU_DEP_2) | instskip(NEXT) | instid1(VALU_DEP_1)
	v_min_u32_e32 v27, 32, v28
	v_add_lshl_u32 v25, v27, v25, 23
	s_delay_alu instid0(VALU_DEP_1) | instskip(SKIP_1) | instid1(VALU_DEP_1)
	v_dual_sub_nc_u32 v21, v21, v25 :: v_dual_bitop2_b32 v24, v24, v26 bitop3:0x54
	v_not_b32_e32 v26, v27
	v_alignbit_b32 v11, v22, v11, v26
	s_delay_alu instid0(VALU_DEP_1) | instskip(NEXT) | instid1(VALU_DEP_1)
	v_dual_mul_f32 v28, 0x3fc90fda, v24 :: v_dual_lshrrev_b32 v11, 9, v11
	v_or_b32_e32 v11, v21, v11
	s_delay_alu instid0(VALU_DEP_2) | instskip(NEXT) | instid1(VALU_DEP_1)
	v_fma_f32 v22, 0x3fc90fda, v24, -v28
	v_fmac_f32_e32 v22, 0x33a22168, v24
	s_delay_alu instid0(VALU_DEP_1) | instskip(NEXT) | instid1(VALU_DEP_1)
	v_fmac_f32_e32 v22, 0x3fc90fda, v11
	v_dual_add_f32 v21, v28, v22 :: v_dual_add_nc_u32 v22, v23, v7
.LBB2_20:                               ;   in Loop: Header=BB2_2 Depth=1
	s_or_saveexec_b32 s3, s15
	v_mul_f32_e64 v7, 0x3f22f983, |v18|
	s_delay_alu instid0(VALU_DEP_1)
	v_rndne_f32_e32 v7, v7
	s_xor_b32 exec_lo, exec_lo, s3
; %bb.21:                               ;   in Loop: Header=BB2_2 Depth=1
	s_delay_alu instid0(VALU_DEP_1) | instskip(SKIP_1) | instid1(VALU_DEP_2)
	v_fma_f32 v21, 0xbfc90fda, v7, |v18|
	v_cvt_i32_f32_e32 v22, v7
	v_fmac_f32_e32 v21, 0xb3a22168, v7
	s_delay_alu instid0(VALU_DEP_1)
	v_fmac_f32_e32 v21, 0xa7c234c4, v7
; %bb.22:                               ;   in Loop: Header=BB2_2 Depth=1
	s_or_b32 exec_lo, exec_lo, s3
                                        ; implicit-def: $vgpr24
                                        ; implicit-def: $vgpr23
	s_and_saveexec_b32 s3, s14
	s_delay_alu instid0(SALU_CYCLE_1)
	s_xor_b32 s14, exec_lo, s3
	s_cbranch_execz .LBB2_24
; %bb.23:                               ;   in Loop: Header=BB2_2 Depth=1
	v_mul_u64_e32 v[24:25], s[8:9], v[14:15]
	v_mov_b32_e32 v27, v15
	v_cmp_lt_u32_e32 vcc_lo, 63, v3
	v_cndmask_b32_e64 v7, 0, 0xffffffc0, vcc_lo
	s_delay_alu instid0(VALU_DEP_4) | instskip(NEXT) | instid1(VALU_DEP_1)
	v_mov_b32_e32 v26, v25
	v_mad_nc_u64_u32 v[26:27], 0x3c439041, v14, v[26:27]
	s_delay_alu instid0(VALU_DEP_1) | instskip(NEXT) | instid1(VALU_DEP_1)
	v_dual_mov_b32 v29, v15 :: v_dual_mov_b32 v28, v27
	v_mad_nc_u64_u32 v[28:29], 0xdb629599, v14, v[28:29]
	s_delay_alu instid0(VALU_DEP_1) | instskip(NEXT) | instid1(VALU_DEP_1)
	v_dual_mov_b32 v31, v15 :: v_dual_mov_b32 v30, v29
	v_mad_nc_u64_u32 v[30:31], 0xf534ddc0, v14, v[30:31]
	s_delay_alu instid0(VALU_DEP_1) | instskip(NEXT) | instid1(VALU_DEP_1)
	v_dual_mov_b32 v33, v15 :: v_dual_mov_b32 v32, v31
	v_mad_nc_u64_u32 v[32:33], 0xfc2757d1, v14, v[32:33]
	s_delay_alu instid0(VALU_DEP_1) | instskip(NEXT) | instid1(VALU_DEP_2)
	v_dual_mov_b32 v35, v15 :: v_dual_mov_b32 v34, v33
	v_cndmask_b32_e32 v25, v32, v28, vcc_lo
	s_delay_alu instid0(VALU_DEP_2) | instskip(SKIP_1) | instid1(VALU_DEP_2)
	v_mad_nc_u64_u32 v[34:35], 0x4e441529, v14, v[34:35]
	v_add_nc_u32_e32 v3, v7, v3
	v_dual_mov_b32 v37, v15 :: v_dual_mov_b32 v36, v35
	s_delay_alu instid0(VALU_DEP_3) | instskip(NEXT) | instid1(VALU_DEP_3)
	v_cndmask_b32_e32 v11, v34, v30, vcc_lo
	v_cmp_lt_u32_e64 s3, 31, v3
	s_delay_alu instid0(VALU_DEP_3) | instskip(NEXT) | instid1(VALU_DEP_2)
	v_mad_nc_u64_u32 v[36:37], 0xa2f9836e, v14, v[36:37]
	v_cndmask_b32_e64 v7, 0, 0xffffffe0, s3
	s_delay_alu instid0(VALU_DEP_1) | instskip(NEXT) | instid1(VALU_DEP_1)
	v_dual_cndmask_b32 v14, v36, v32 :: v_dual_add_nc_u32 v3, v7, v3
	v_cmp_lt_u32_e64 s4, 31, v3
	s_delay_alu instid0(VALU_DEP_4) | instskip(NEXT) | instid1(VALU_DEP_2)
	v_cndmask_b32_e32 v23, v37, v34, vcc_lo
	v_cndmask_b32_e64 v7, 0, 0xffffffe0, s4
	s_delay_alu instid0(VALU_DEP_1) | instskip(NEXT) | instid1(VALU_DEP_3)
	v_dual_add_nc_u32 v3, v7, v3 :: v_dual_cndmask_b32 v7, v30, v26, vcc_lo
	v_dual_cndmask_b32 v26, v14, v11, s3 :: v_dual_cndmask_b32 v14, v23, v14, s3
	s_delay_alu instid0(VALU_DEP_2) | instskip(NEXT) | instid1(VALU_DEP_2)
	v_dual_cndmask_b32 v11, v11, v25, s3 :: v_dual_sub_nc_u32 v23, 32, v3
	v_dual_cndmask_b32 v25, v25, v7, s3 :: v_dual_cndmask_b32 v14, v14, v26, s4
	s_delay_alu instid0(VALU_DEP_1) | instskip(NEXT) | instid1(VALU_DEP_1)
	v_dual_cndmask_b32 v26, v26, v11, s4 :: v_dual_cndmask_b32 v11, v11, v25, s4
	v_alignbit_b32 v27, v14, v26, v23
	v_cndmask_b32_e32 v24, v28, v24, vcc_lo
	v_cmp_eq_u32_e32 vcc_lo, 0, v3
	s_delay_alu instid0(VALU_DEP_4) | instskip(NEXT) | instid1(VALU_DEP_4)
	v_alignbit_b32 v28, v26, v11, v23
	v_cndmask_b32_e32 v3, v27, v14, vcc_lo
	s_delay_alu instid0(VALU_DEP_2) | instskip(NEXT) | instid1(VALU_DEP_2)
	v_dual_cndmask_b32 v7, v7, v24, s3 :: v_dual_cndmask_b32 v14, v28, v26, vcc_lo
	v_bfe_u32 v24, v3, 29, 1
	s_delay_alu instid0(VALU_DEP_2) | instskip(NEXT) | instid1(VALU_DEP_3)
	v_cndmask_b32_e64 v7, v25, v7, s4
	v_alignbit_b32 v25, v3, v14, 30
	s_delay_alu instid0(VALU_DEP_3) | instskip(NEXT) | instid1(VALU_DEP_3)
	v_sub_nc_u32_e32 v26, 0, v24
	v_alignbit_b32 v23, v11, v7, v23
	s_delay_alu instid0(VALU_DEP_1) | instskip(NEXT) | instid1(VALU_DEP_1)
	v_dual_cndmask_b32 v11, v23, v11, vcc_lo :: v_dual_bitop2_b32 v25, v25, v26 bitop3:0x14
	v_clz_i32_u32_e32 v23, v25
	s_delay_alu instid0(VALU_DEP_2) | instskip(SKIP_1) | instid1(VALU_DEP_3)
	v_alignbit_b32 v14, v14, v11, 30
	v_alignbit_b32 v7, v11, v7, 30
	v_min_u32_e32 v23, 32, v23
	s_delay_alu instid0(VALU_DEP_3) | instskip(NEXT) | instid1(VALU_DEP_3)
	v_xor_b32_e32 v11, v14, v26
	v_dual_lshrrev_b32 v26, 29, v3 :: v_dual_bitop2_b32 v7, v7, v26 bitop3:0x14
	v_lshrrev_b32_e32 v3, 30, v3
	s_delay_alu instid0(VALU_DEP_4) | instskip(NEXT) | instid1(VALU_DEP_2)
	v_dual_sub_nc_u32 v14, 31, v23 :: v_dual_lshlrev_b32 v27, 23, v23
	v_add_nc_u32_e32 v24, v24, v3
	s_delay_alu instid0(VALU_DEP_2) | instskip(SKIP_2) | instid1(VALU_DEP_2)
	v_alignbit_b32 v25, v25, v11, v14
	v_alignbit_b32 v7, v11, v7, v14
	v_lshlrev_b32_e32 v11, 31, v26
	v_alignbit_b32 v14, v25, v7, 9
	s_delay_alu instid0(VALU_DEP_2) | instskip(SKIP_1) | instid1(VALU_DEP_3)
	v_dual_lshrrev_b32 v25, 9, v25 :: v_dual_bitop2_b32 v26, 0.5, v11 bitop3:0x54
	v_or_b32_e32 v11, 0x33000000, v11
	v_clz_i32_u32_e32 v28, v14
	s_delay_alu instid0(VALU_DEP_3) | instskip(NEXT) | instid1(VALU_DEP_2)
	v_sub_nc_u32_e32 v26, v26, v27
	v_min_u32_e32 v27, 32, v28
	s_delay_alu instid0(VALU_DEP_1) | instskip(NEXT) | instid1(VALU_DEP_3)
	v_add_lshl_u32 v23, v27, v23, 23
	v_or_b32_e32 v25, v25, v26
	v_not_b32_e32 v26, v27
	s_delay_alu instid0(VALU_DEP_3) | instskip(NEXT) | instid1(VALU_DEP_2)
	v_sub_nc_u32_e32 v11, v11, v23
	v_alignbit_b32 v7, v14, v7, v26
	s_delay_alu instid0(VALU_DEP_1) | instskip(NEXT) | instid1(VALU_DEP_1)
	v_dual_mul_f32 v28, 0x3fc90fda, v25 :: v_dual_lshrrev_b32 v7, 9, v7
	v_fma_f32 v14, 0x3fc90fda, v25, -v28
	s_delay_alu instid0(VALU_DEP_2) | instskip(NEXT) | instid1(VALU_DEP_2)
	v_or_b32_e32 v7, v11, v7
	v_fmac_f32_e32 v14, 0x33a22168, v25
	s_delay_alu instid0(VALU_DEP_1) | instskip(NEXT) | instid1(VALU_DEP_1)
	v_fmac_f32_e32 v14, 0x3fc90fda, v7
                                        ; implicit-def: $vgpr7
	v_add_f32_e32 v23, v28, v14
	s_and_not1_saveexec_b32 s3, s14
	s_cbranch_execz .LBB2_1
	s_branch .LBB2_25
.LBB2_24:                               ;   in Loop: Header=BB2_2 Depth=1
	s_and_not1_saveexec_b32 s3, s14
	s_cbranch_execz .LBB2_1
.LBB2_25:                               ;   in Loop: Header=BB2_2 Depth=1
	v_fma_f32 v23, 0xbfc90fda, v7, |v18|
	v_cvt_i32_f32_e32 v24, v7
	s_delay_alu instid0(VALU_DEP_2) | instskip(NEXT) | instid1(VALU_DEP_1)
	v_fmac_f32_e32 v23, 0xb3a22168, v7
	v_fmac_f32_e32 v23, 0xa7c234c4, v7
	s_branch .LBB2_1
.LBB2_26:
	s_clause 0xc
	scratch_load_b128 v[0:3], off, off offset:160
	scratch_load_b128 v[4:7], off, off offset:192
	;; [unrolled: 1-line block ×12, first 2 shown]
	scratch_load_b128 v[44:47], off, off
	s_clause 0x1
	s_load_b64 s[4:5], s[0:1], 0x0
	s_load_b128 s[20:23], s[0:1], 0x48
	v_mov_b32_e32 v73, 0
	s_add_nc_u64 s[16:17], s[16:17], 8
	s_mov_b32 s25, 0
	s_mov_b32 s24, 0x42340000
	s_wait_kmcnt 0x0
	s_max_i32 s28, s5, 1
	s_max_i32 s29, s4, 1
	s_wait_loadcnt 0xb
	v_dual_mov_b32 v52, v3 :: v_dual_mov_b32 v53, v7
	v_dual_mov_b32 v54, v0 :: v_dual_mov_b32 v55, v4
	v_dual_mov_b32 v4, v1 :: v_dual_mov_b32 v3, v6
	s_wait_loadcnt 0x9
	v_dual_mov_b32 v0, v11 :: v_dual_mov_b32 v1, v15
	v_dual_mov_b32 v56, v8 :: v_dual_mov_b32 v57, v12
	v_dual_mov_b32 v12, v9 :: v_dual_mov_b32 v11, v14
	;; [unrolled: 4-line block ×4, first 2 shown]
.LBB2_27:                               ; =>This Loop Header: Depth=1
                                        ;     Child Loop BB2_28 Depth 2
	v_mov_b32_e32 v6, s25
	s_mov_b32 s30, s28
	s_mov_b64 s[26:27], s[16:17]
	global_load_b128 v[14:17], v6, s[18:19] scale_offset
	s_wait_loadcnt 0x0
	global_load_b128 v[6:9], v17, s[22:23] scale_offset
	v_fma_f32 v74, v14, v32, v35
	v_pk_fma_f32 v[22:23], v[14:15], v[64:65], v[62:63] op_sel_hi:[0,1,1]
	v_fma_f32 v75, v14, v36, v39
	v_pk_fma_f32 v[24:25], v[14:15], v[60:61], v[58:59] op_sel_hi:[0,1,1]
	v_pk_fma_f32 v[30:31], v[14:15], v[56:57], v[0:1] op_sel_hi:[0,1,1]
	v_fma_f32 v77, v14, v48, v51
	v_fma_f32 v76, v14, v40, v43
	v_pk_fma_f32 v[66:67], v[14:15], v[54:55], v[52:53] op_sel_hi:[0,1,1]
	v_fmac_f32_e32 v74, v15, v33
	v_pk_fma_f32 v[22:23], v[14:15], v[28:29], v[22:23] op_sel:[1,0,0]
	v_fmac_f32_e32 v75, v15, v37
	v_pk_fma_f32 v[24:25], v[14:15], v[20:21], v[24:25] op_sel:[1,0,0]
	v_pk_fma_f32 v[68:69], v[14:15], v[12:13], v[30:31] op_sel:[1,0,0]
	v_fmac_f32_e32 v77, v15, v49
	v_fmac_f32_e32 v76, v15, v41
	v_pk_fma_f32 v[14:15], v[14:15], v[4:5], v[66:67] op_sel:[1,0,0]
	v_fmac_f32_e32 v74, v16, v34
	v_pk_fma_f32 v[30:31], v[16:17], v[26:27], v[22:23] op_sel_hi:[0,1,1]
	v_fmac_f32_e32 v75, v16, v38
	v_pk_fma_f32 v[66:67], v[16:17], v[18:19], v[24:25] op_sel_hi:[0,1,1]
	;; [unrolled: 2-line block ×4, first 2 shown]
	s_wait_loadcnt 0x0
	v_readfirstlane_b32 s31, v8
	v_readfirstlane_b32 s0, v6
	s_cmp_gt_f32 s31, 0
	s_cselect_b32 s34, -1, 0
	s_cmp_eq_u32 s0, 0x46
	s_cselect_b32 s35, -1, 0
	s_cmp_eq_u32 s0, 0x45
	s_cselect_b32 s36, -1, 0
	s_cmp_lt_f32 s31, 0
	s_cselect_b32 s37, -1, 0
	s_delay_alu instid0(SALU_CYCLE_1)
	s_and_b32 s0, s37, exec_lo
	s_cselect_b32 s38, 0x40b00000, 1.0
	s_cselect_b32 s39, 1.0, 0xff7fffff
	s_xor_b32 s40, s31, 0x80000000
.LBB2_28:                               ;   Parent Loop BB2_27 Depth=1
                                        ; =>  This Inner Loop Header: Depth=2
	global_load_b128 v[22:25], v73, s[26:27] offset:-8
	s_wait_xcnt 0x0
	s_add_nc_u64 s[26:27], s[26:27], 16
	s_wait_loadcnt 0x0
	global_load_b128 v[14:17], v25, s[22:23] scale_offset
	v_dual_mov_b32 v78, v22 :: v_dual_mov_b32 v79, v24
	v_dual_sub_f32 v6, v74, v23 :: v_dual_sub_f32 v8, v75, v23
	v_dual_sub_f32 v82, v76, v23 :: v_dual_sub_f32 v83, v77, v23
	s_delay_alu instid0(VALU_DEP_3)
	v_pk_add_f32 v[22:23], v[30:31], v[78:79] neg_lo:[0,1] neg_hi:[0,1]
	v_pk_add_f32 v[80:81], v[68:69], v[78:79] neg_lo:[0,1] neg_hi:[0,1]
	s_wait_xcnt 0x0
	v_pk_add_f32 v[24:25], v[66:67], v[78:79] neg_lo:[0,1] neg_hi:[0,1]
	v_pk_add_f32 v[78:79], v[70:71], v[78:79] neg_lo:[0,1] neg_hi:[0,1]
	v_pk_mul_f32 v[22:23], v[22:23], v[22:23]
	v_pk_mul_f32 v[80:81], v[80:81], v[80:81]
	s_delay_alu instid0(VALU_DEP_4) | instskip(NEXT) | instid1(VALU_DEP_4)
	v_pk_mul_f32 v[24:25], v[24:25], v[24:25]
	v_pk_mul_f32 v[78:79], v[78:79], v[78:79]
	s_delay_alu instid0(VALU_DEP_4) | instskip(NEXT) | instid1(VALU_DEP_4)
	v_fma_f32 v6, v6, v6, v22
	v_fma_f32 v22, v82, v82, v80
	s_delay_alu instid0(VALU_DEP_3) | instskip(NEXT) | instid1(VALU_DEP_3)
	v_dual_fma_f32 v8, v8, v8, v24 :: v_dual_fma_f32 v24, v83, v83, v78
	v_add_f32_e32 v6, v6, v23
	s_delay_alu instid0(VALU_DEP_3) | instskip(NEXT) | instid1(VALU_DEP_3)
	v_add_f32_e32 v22, v22, v81
	v_add_f32_e32 v8, v8, v25
	s_delay_alu instid0(VALU_DEP_3) | instskip(NEXT) | instid1(VALU_DEP_3)
	v_dual_add_f32 v23, v24, v79 :: v_dual_mul_f32 v24, 0x4f800000, v6
	v_mul_f32_e32 v78, 0x4f800000, v22
	v_cmp_gt_f32_e64 s1, 0xf800000, v22
	s_delay_alu instid0(VALU_DEP_3)
	v_mul_f32_e32 v79, 0x4f800000, v23
	v_cmp_gt_f32_e64 s3, 0xf800000, v23
	v_mul_f32_e32 v25, 0x4f800000, v8
	v_cmp_gt_f32_e32 vcc_lo, 0xf800000, v8
	v_cndmask_b32_e64 v22, v22, v78, s1
	v_cmp_gt_f32_e64 s0, 0xf800000, v6
	s_delay_alu instid0(VALU_DEP_4) | instskip(NEXT) | instid1(VALU_DEP_3)
	v_dual_cndmask_b32 v23, v23, v79, s3 :: v_dual_cndmask_b32 v8, v8, v25, vcc_lo
	v_sqrt_f32_e32 v78, v22
	s_delay_alu instid0(VALU_DEP_2) | instskip(NEXT) | instid1(VALU_DEP_2)
	v_cndmask_b32_e64 v6, v6, v24, s0
	v_sqrt_f32_e32 v79, v23
	v_cmp_class_f32_e64 s5, v22, 0x260
	v_sqrt_f32_e32 v25, v8
	v_cmp_class_f32_e64 s6, v23, 0x260
	v_sqrt_f32_e32 v24, v6
	v_dual_add_nc_u32 v84, -1, v78 :: v_dual_add_nc_u32 v85, 1, v78
	s_delay_alu instid0(TRANS32_DEP_3) | instskip(NEXT) | instid1(TRANS32_DEP_2)
	v_dual_add_nc_u32 v86, -1, v79 :: v_dual_add_nc_u32 v87, 1, v79
	v_dual_add_nc_u32 v82, -1, v25 :: v_dual_add_nc_u32 v83, 1, v25
	s_delay_alu instid0(VALU_DEP_3) | instskip(NEXT) | instid1(TRANS32_DEP_1)
	v_dual_fma_f32 v92, -v84, v78, v22 :: v_dual_fma_f32 v93, -v85, v78, v22
	v_dual_add_nc_u32 v80, -1, v24 :: v_dual_add_nc_u32 v81, 1, v24
	s_delay_alu instid0(VALU_DEP_4) | instskip(NEXT) | instid1(VALU_DEP_3)
	v_dual_fma_f32 v94, -v86, v79, v23 :: v_dual_fma_f32 v95, -v87, v79, v23
	v_cmp_ge_f32_e64 s11, 0, v92
	s_delay_alu instid0(VALU_DEP_3)
	v_dual_fma_f32 v88, -v80, v24, v6 :: v_dual_fma_f32 v89, -v81, v24, v6
	v_dual_fma_f32 v90, -v82, v25, v8 :: v_dual_fma_f32 v91, -v83, v25, v8
	v_cmp_lt_f32_e64 s12, 0, v93
	v_cmp_ge_f32_e64 s13, 0, v94
	v_cndmask_b32_e64 v78, v78, v84, s11
	v_cmp_ge_f32_e64 s8, 0, v88
	v_cmp_ge_f32_e64 s9, 0, v90
	v_cmp_lt_f32_e64 s14, 0, v95
	s_delay_alu instid0(VALU_DEP_4) | instskip(SKIP_3) | instid1(VALU_DEP_4)
	v_dual_cndmask_b32 v79, v79, v86, s13 :: v_dual_cndmask_b32 v78, v78, v85, s12
	v_cmp_lt_f32_e64 s10, 0, v91
	v_cmp_lt_f32_e64 s15, 0, v89
	v_dual_cndmask_b32 v24, v24, v80, s8 :: v_dual_cndmask_b32 v25, v25, v82, s9
	v_cndmask_b32_e64 v79, v79, v87, s14
	v_mul_f32_e32 v82, 0x37800000, v78
	v_cmp_class_f32_e64 s4, v8, 0x260
	s_delay_alu instid0(VALU_DEP_4) | instskip(NEXT) | instid1(VALU_DEP_4)
	v_dual_cndmask_b32 v24, v24, v81, s15 :: v_dual_cndmask_b32 v25, v25, v83, s10
	v_mul_f32_e32 v83, 0x37800000, v79
	s_delay_alu instid0(VALU_DEP_4) | instskip(SKIP_1) | instid1(VALU_DEP_4)
	v_cndmask_b32_e64 v78, v78, v82, s1
	v_cmp_class_f32_e64 s7, v6, 0x260
	v_dual_mul_f32 v80, 0x37800000, v24 :: v_dual_mul_f32 v81, 0x37800000, v25
	s_delay_alu instid0(VALU_DEP_3) | instskip(NEXT) | instid1(VALU_DEP_2)
	v_dual_cndmask_b32 v79, v79, v83, s3 :: v_dual_cndmask_b32 v22, v78, v22, s5
	v_dual_cndmask_b32 v24, v24, v80, s0 :: v_dual_cndmask_b32 v25, v25, v81, vcc_lo
	s_delay_alu instid0(VALU_DEP_1) | instskip(NEXT) | instid1(VALU_DEP_2)
	v_dual_cndmask_b32 v23, v79, v23, s6 :: v_dual_cndmask_b32 v24, v24, v6, s7
	v_cndmask_b32_e64 v25, v25, v8, s4
	s_wait_loadcnt 0x0
	v_readfirstlane_b32 s5, v14
	v_dual_add_f32 v6, v7, v15 :: v_dual_mul_f32 v8, v9, v17
	v_readfirstlane_b32 s10, v16
	s_cmp_eq_u32 s5, 0x46
	v_div_scale_f32 v78, null, v6, v6, 1.0
	s_cselect_b32 s0, -1, 0
	v_pk_add_f32 v[14:15], v[24:25], v[6:7] op_sel_hi:[1,0] neg_lo:[0,1] neg_hi:[0,1]
	s_and_b32 s6, s0, s35
	v_pk_add_f32 v[16:17], v[22:23], v[6:7] op_sel_hi:[1,0] neg_lo:[0,1] neg_hi:[0,1]
	s_and_b32 s6, s6, exec_lo
	s_cselect_b32 s9, 4.0, 2.0
	s_cselect_b32 s8, 0x3e800000, 0.5
	s_cmp_eq_u32 s5, 0x45
	v_xor_b32_e32 v91, 0x80000000, v78
	s_cselect_b32 s11, -1, 0
	v_rcp_f32_e32 v92, v78
	v_nop
	v_pk_fma_f32 v[78:79], s[8:9], v[14:15], 1.0 op_sel_hi:[0,1,0] neg_lo:[1,0,0] neg_hi:[1,0,0]
	v_cmp_gt_f32_e64 s5, s9, v15
	v_cmp_gt_f32_e64 s6, s9, v14
	v_pk_fma_f32 v[80:81], s[8:9], v[16:17], 1.0 op_sel_hi:[0,1,0] neg_lo:[1,0,0] neg_hi:[1,0,0]
	v_cmp_gt_f32_e64 s7, s9, v17
	v_cmp_gt_f32_e64 s8, s9, v16
	s_or_b32 s9, s11, s36
	s_cmp_gt_f32 s10, 0
	v_cmp_gt_f32_e64 s0, 0, v15
	v_cmp_gt_f32_e64 s1, 0, v14
	;; [unrolled: 1-line block ×3, first 2 shown]
	s_cselect_b32 s11, -1, 0
	s_cmp_neq_f32 s10, 0
	v_cmp_gt_f32_e64 s4, 0, v16
	v_fma_f32 v93, v91, v92, 1.0
	v_cndmask_b32_e64 v87, 0, 1.0, s5
	s_cselect_b32 s12, -1, 0
	s_cmp_lt_f32 s10, 0
	v_cndmask_b32_e64 v86, 0, 1.0, s6
	v_cndmask_b32_e64 v79, v79, 1.0, s0
	;; [unrolled: 1-line block ×3, first 2 shown]
	s_cselect_b32 s5, -1, 0
	v_div_scale_f32 v90, vcc_lo, 1.0, v6, 1.0
	s_and_b32 s6, s5, exec_lo
	s_cselect_b32 s13, s38, s39
	v_cndmask_b32_e64 v89, 0, 1.0, s7
	v_cndmask_b32_e64 v88, 0, 1.0, s8
	;; [unrolled: 1-line block ×4, first 2 shown]
	v_fmac_f32_e32 v92, v93, v92
	v_pk_mul_f32 v[78:79], v[86:87], v[78:79]
	v_div_scale_f32 v86, null, s13, s13, 1.0
	s_delay_alu instid0(VALU_DEP_4) | instskip(SKIP_1) | instid1(VALU_DEP_3)
	v_pk_mul_f32 v[80:81], v[88:89], v[80:81]
	s_and_b32 s5, s5, s34
	v_pk_mul_f32 v[78:79], v[8:9], v[78:79] op_sel_hi:[0,1]
	s_delay_alu instid0(VALU_DEP_3)
	v_rcp_f32_e32 v95, v86
	v_mul_f32_e32 v93, v90, v92
	v_pk_mul_f32 v[80:81], v[8:9], v[80:81] op_sel_hi:[0,1]
	s_xor_b32 s14, s10, 0x80000000
	s_and_b32 s5, s5, exec_lo
	v_div_scale_f32 v94, s5, 1.0, s13, 1.0
	v_fma_f32 v8, v91, v93, v90
	v_cndmask_b32_e64 v79, v79, -|v79|, s9
	v_cndmask_b32_e64 v78, v78, -|v78|, s9
	;; [unrolled: 1-line block ×4, first 2 shown]
	v_fmac_f32_e32 v93, v8, v92
	v_xor_b32_e32 v8, 0x80000000, v86
	v_cmp_gt_f32_e64 s6, s13, v15
	v_cmp_gt_f32_e64 s7, s13, v14
	v_cmp_gt_f32_e64 s8, s13, v17
	v_fmac_f32_e32 v90, v91, v93
	v_fma_f32 v91, v8, v95, 1.0
	v_cmp_gt_f32_e64 s9, s13, v16
	v_cndmask_b32_e64 v83, 0, 0x42980000, s0
	v_cndmask_b32_e64 v82, 0, 0x42980000, s1
	v_div_fmas_f32 v90, v90, v92, v93
	v_fmac_f32_e32 v95, v91, v95
	s_mov_b32 vcc_lo, s5
	v_cndmask_b32_e64 v85, 0, 0x42980000, s3
	v_cndmask_b32_e64 v84, 0, 0x42980000, s4
	v_div_fixup_f32 v6, v90, v6, 1.0
	v_mul_f32_e32 v90, v94, v95
	s_cselect_b32 s10, s14, s10
	s_and_b32 s11, s11, s37
	s_delay_alu instid0(VALU_DEP_2) | instskip(NEXT) | instid1(VALU_DEP_2)
	v_pk_fma_f32 v[24:25], v[6:7], v[24:25], 1.0 op_sel_hi:[0,1,0] neg_lo:[1,0,0] neg_hi:[1,0,0]
	v_fma_f32 v91, v8, v90, v94
	v_pk_fma_f32 v[22:23], v[6:7], v[22:23], 1.0 op_sel_hi:[0,1,0] neg_lo:[1,0,0] neg_hi:[1,0,0]
	s_and_b32 s11, s11, exec_lo
	s_cselect_b32 s11, s40, s31
	s_and_b32 s14, s12, s6
	v_fmac_f32_e32 v90, v91, v95
	s_and_b32 s7, s12, s7
	s_and_b32 s8, s12, s8
	;; [unrolled: 1-line block ×3, first 2 shown]
	v_cndmask_b32_e64 v87, 0, 1.0, s14
	v_fmac_f32_e32 v94, v8, v90
	v_cndmask_b32_e64 v86, 0, 1.0, s7
	v_cndmask_b32_e64 v89, 0, 1.0, s8
	;; [unrolled: 1-line block ×3, first 2 shown]
	v_pk_fma_f32 v[24:25], v[24:25], v[82:83], v[44:45]
	v_div_fmas_f32 v6, v94, v95, v90
	v_pk_fma_f32 v[22:23], v[22:23], v[84:85], v[46:47]
	s_add_f32 s6, s10, s11
	s_add_co_i32 s30, s30, -1
	v_pk_fma_f32 v[24:25], v[78:79], s[24:25], v[24:25] op_sel_hi:[1,0,1]
	v_div_fixup_f32 v6, v6, s13, 1.0
	v_pk_mul_f32 v[86:87], s[6:7], v[86:87] op_sel_hi:[0,1]
	v_pk_mul_f32 v[88:89], s[6:7], v[88:89] op_sel_hi:[0,1]
	v_pk_fma_f32 v[22:23], v[80:81], s[24:25], v[22:23] op_sel_hi:[1,0,1]
	s_cmp_lg_u32 s30, 0
	v_pk_fma_f32 v[14:15], v[6:7], v[14:15], 1.0 op_sel_hi:[0,1,0] neg_lo:[1,0,0] neg_hi:[1,0,0]
	v_pk_fma_f32 v[16:17], v[6:7], v[16:17], 1.0 op_sel_hi:[0,1,0] neg_lo:[1,0,0] neg_hi:[1,0,0]
	s_delay_alu instid0(VALU_DEP_2) | instskip(NEXT) | instid1(VALU_DEP_3)
	v_cndmask_b32_e64 v15, v15, 1.0, s0
	v_cndmask_b32_e64 v14, v14, 1.0, s1
	s_delay_alu instid0(VALU_DEP_3) | instskip(NEXT) | instid1(VALU_DEP_4)
	v_cndmask_b32_e64 v17, v17, 1.0, s3
	v_cndmask_b32_e64 v16, v16, 1.0, s4
	s_delay_alu instid0(VALU_DEP_3) | instskip(NEXT) | instid1(VALU_DEP_2)
	v_pk_fma_f32 v[44:45], v[14:15], v[86:87], v[24:25]
	v_pk_fma_f32 v[46:47], v[16:17], v[88:89], v[22:23]
	s_cbranch_scc1 .LBB2_28
; %bb.29:                               ;   in Loop: Header=BB2_27 Depth=1
	s_add_co_i32 s25, s25, 1
	s_delay_alu instid0(SALU_CYCLE_1)
	s_cmp_lg_u32 s25, s29
	s_cbranch_scc1 .LBB2_27
; %bb.30:
	scratch_store_b128 off, v[44:47], off
	s_wait_xcnt 0x0
	s_and_saveexec_b32 s0, s2
	s_cbranch_execz .LBB2_32
; %bb.31:
	v_dual_mul_f32 v3, 0.5, v45 :: v_dual_add_nc_u32 v0, s33, v72
	v_dual_mul_f32 v2, 0.5, v44 :: v_dual_mul_f32 v5, 0.5, v47
	s_delay_alu instid0(VALU_DEP_2) | instskip(NEXT) | instid1(VALU_DEP_1)
	v_dual_mul_f32 v4, 0.5, v46 :: v_dual_add_nc_u32 v1, s33, v0
	v_add_nc_u32_e32 v6, s33, v1
	s_clause 0x3
	global_store_b32 v72, v2, s[20:21] scale_offset
	global_store_b32 v0, v3, s[20:21] scale_offset
	;; [unrolled: 1-line block ×4, first 2 shown]
.LBB2_32:
	s_sendmsg sendmsg(MSG_DEALLOC_VGPRS)
	s_endpgm
	.section	.rodata,"a",@progbits
	.p2align	6, 0x0
	.amdhsa_kernel _ZL11fasten_mainILm4EEviiPK4AtomS2_PKfS4_S4_S4_S4_S4_PfPK8FFParamsi
		.amdhsa_group_segment_fixed_size 0
		.amdhsa_private_segment_fixed_size 224
		.amdhsa_kernarg_size 352
		.amdhsa_user_sgpr_count 2
		.amdhsa_user_sgpr_dispatch_ptr 0
		.amdhsa_user_sgpr_queue_ptr 0
		.amdhsa_user_sgpr_kernarg_segment_ptr 1
		.amdhsa_user_sgpr_dispatch_id 0
		.amdhsa_user_sgpr_kernarg_preload_length 0
		.amdhsa_user_sgpr_kernarg_preload_offset 0
		.amdhsa_user_sgpr_private_segment_size 0
		.amdhsa_wavefront_size32 1
		.amdhsa_uses_dynamic_stack 0
		.amdhsa_enable_private_segment 1
		.amdhsa_system_sgpr_workgroup_id_x 1
		.amdhsa_system_sgpr_workgroup_id_y 0
		.amdhsa_system_sgpr_workgroup_id_z 0
		.amdhsa_system_sgpr_workgroup_info 0
		.amdhsa_system_vgpr_workitem_id 0
		.amdhsa_next_free_vgpr 96
		.amdhsa_next_free_sgpr 41
		.amdhsa_named_barrier_count 0
		.amdhsa_reserve_vcc 1
		.amdhsa_float_round_mode_32 0
		.amdhsa_float_round_mode_16_64 0
		.amdhsa_float_denorm_mode_32 3
		.amdhsa_float_denorm_mode_16_64 3
		.amdhsa_fp16_overflow 0
		.amdhsa_memory_ordered 1
		.amdhsa_forward_progress 1
		.amdhsa_inst_pref_size 65
		.amdhsa_round_robin_scheduling 0
		.amdhsa_exception_fp_ieee_invalid_op 0
		.amdhsa_exception_fp_denorm_src 0
		.amdhsa_exception_fp_ieee_div_zero 0
		.amdhsa_exception_fp_ieee_overflow 0
		.amdhsa_exception_fp_ieee_underflow 0
		.amdhsa_exception_fp_ieee_inexact 0
		.amdhsa_exception_int_div_zero 0
	.end_amdhsa_kernel
	.section	.text._ZL11fasten_mainILm4EEviiPK4AtomS2_PKfS4_S4_S4_S4_S4_PfPK8FFParamsi,"axG",@progbits,_ZL11fasten_mainILm4EEviiPK4AtomS2_PKfS4_S4_S4_S4_S4_PfPK8FFParamsi,comdat
.Lfunc_end2:
	.size	_ZL11fasten_mainILm4EEviiPK4AtomS2_PKfS4_S4_S4_S4_S4_PfPK8FFParamsi, .Lfunc_end2-_ZL11fasten_mainILm4EEviiPK4AtomS2_PKfS4_S4_S4_S4_S4_PfPK8FFParamsi
                                        ; -- End function
	.set _ZL11fasten_mainILm4EEviiPK4AtomS2_PKfS4_S4_S4_S4_S4_PfPK8FFParamsi.num_vgpr, 96
	.set _ZL11fasten_mainILm4EEviiPK4AtomS2_PKfS4_S4_S4_S4_S4_PfPK8FFParamsi.num_agpr, 0
	.set _ZL11fasten_mainILm4EEviiPK4AtomS2_PKfS4_S4_S4_S4_S4_PfPK8FFParamsi.numbered_sgpr, 41
	.set _ZL11fasten_mainILm4EEviiPK4AtomS2_PKfS4_S4_S4_S4_S4_PfPK8FFParamsi.num_named_barrier, 0
	.set _ZL11fasten_mainILm4EEviiPK4AtomS2_PKfS4_S4_S4_S4_S4_PfPK8FFParamsi.private_seg_size, 224
	.set _ZL11fasten_mainILm4EEviiPK4AtomS2_PKfS4_S4_S4_S4_S4_PfPK8FFParamsi.uses_vcc, 1
	.set _ZL11fasten_mainILm4EEviiPK4AtomS2_PKfS4_S4_S4_S4_S4_PfPK8FFParamsi.uses_flat_scratch, 1
	.set _ZL11fasten_mainILm4EEviiPK4AtomS2_PKfS4_S4_S4_S4_S4_PfPK8FFParamsi.has_dyn_sized_stack, 0
	.set _ZL11fasten_mainILm4EEviiPK4AtomS2_PKfS4_S4_S4_S4_S4_PfPK8FFParamsi.has_recursion, 0
	.set _ZL11fasten_mainILm4EEviiPK4AtomS2_PKfS4_S4_S4_S4_S4_PfPK8FFParamsi.has_indirect_call, 0
	.section	.AMDGPU.csdata,"",@progbits
; Kernel info:
; codeLenInByte = 8216
; TotalNumSgprs: 43
; NumVgprs: 96
; ScratchSize: 224
; MemoryBound: 0
; FloatMode: 240
; IeeeMode: 1
; LDSByteSize: 0 bytes/workgroup (compile time only)
; SGPRBlocks: 0
; VGPRBlocks: 5
; NumSGPRsForWavesPerEU: 43
; NumVGPRsForWavesPerEU: 96
; NamedBarCnt: 0
; Occupancy: 10
; WaveLimiterHint : 1
; COMPUTE_PGM_RSRC2:SCRATCH_EN: 1
; COMPUTE_PGM_RSRC2:USER_SGPR: 2
; COMPUTE_PGM_RSRC2:TRAP_HANDLER: 0
; COMPUTE_PGM_RSRC2:TGID_X_EN: 1
; COMPUTE_PGM_RSRC2:TGID_Y_EN: 0
; COMPUTE_PGM_RSRC2:TGID_Z_EN: 0
; COMPUTE_PGM_RSRC2:TIDIG_COMP_CNT: 0
	.section	.text._ZL11fasten_mainILm8EEviiPK4AtomS2_PKfS4_S4_S4_S4_S4_PfPK8FFParamsi,"axG",@progbits,_ZL11fasten_mainILm8EEviiPK4AtomS2_PKfS4_S4_S4_S4_S4_PfPK8FFParamsi,comdat
	.globl	_ZL11fasten_mainILm8EEviiPK4AtomS2_PKfS4_S4_S4_S4_S4_PfPK8FFParamsi ; -- Begin function _ZL11fasten_mainILm8EEviiPK4AtomS2_PKfS4_S4_S4_S4_S4_PfPK8FFParamsi
	.p2align	8
	.type	_ZL11fasten_mainILm8EEviiPK4AtomS2_PKfS4_S4_S4_S4_S4_PfPK8FFParamsi,@function
_ZL11fasten_mainILm8EEviiPK4AtomS2_PKfS4_S4_S4_S4_S4_PfPK8FFParamsi: ; @_ZL11fasten_mainILm8EEviiPK4AtomS2_PKfS4_S4_S4_S4_S4_PfPK8FFParamsi
; %bb.0:
	s_clause 0x1
	s_load_b32 s2, s[0:1], 0x6c
	s_load_b32 s3, s[0:1], 0x58
	s_bfe_u32 s4, ttmp6, 0x4000c
	s_and_b32 s5, ttmp6, 15
	s_add_co_i32 s4, s4, 1
	s_getreg_b32 s6, hwreg(HW_REG_IB_STS2, 6, 4)
	s_mul_i32 s4, ttmp9, s4
	s_load_b512 s[8:23], s[0:1], 0x8
	s_add_co_i32 s5, s5, s4
	s_mov_b32 s7, 0
	s_mov_b64 s[24:25], 0xfe5163ab
	s_mov_b32 s27, 0x7fffff
	s_mov_b32 s28, 0xb94c1982
	;; [unrolled: 1-line block ×4, first 2 shown]
	v_mov_b32_e32 v15, 0
	s_wait_kmcnt 0x0
	s_and_b32 s26, s2, 0xffff
	s_cmp_eq_u32 s6, 0
	s_cselect_b32 s2, ttmp9, s5
	s_add_co_i32 s4, s3, -8
	s_mul_i32 s2, s2, s26
	s_mov_b32 s5, 0
	v_lshl_add_u32 v99, s2, 3, v0
	s_lshl_b32 s6, s26, 2
	s_delay_alu instid0(VALU_DEP_1) | instskip(NEXT) | instid1(VALU_DEP_1)
	v_cmp_gt_i32_e64 s2, s3, v99
	v_cndmask_b32_e64 v0, s4, v99, s2
	s_delay_alu instid0(VALU_DEP_1) | instskip(NEXT) | instid1(VALU_DEP_1)
	v_ashrrev_i32_e32 v1, 31, v0
	v_lshlrev_b64_e32 v[12:13], 2, v[0:1]
	s_branch .LBB3_2
.LBB3_1:                                ;   in Loop: Header=BB3_2 Depth=1
	s_or_b32 exec_lo, exec_lo, s3
	v_add_nc_u64_e32 v[26:27], s[18:19], v[12:13]
	v_add_nc_u64_e32 v[28:29], s[20:21], v[12:13]
	v_add_nc_u64_e32 v[30:31], s[22:23], v[12:13]
	v_dual_mul_f32 v32, v2, v2 :: v_dual_bitop2_b32 v33, 1, v4 bitop3:0x40
	v_dual_lshlrev_b32 v4, 30, v4 :: v_dual_mul_f32 v34, v23, v23
	global_load_b32 v11, v[26:27], off
	global_load_b32 v7, v[28:29], off
	;; [unrolled: 1-line block ×3, first 2 shown]
	v_dual_mul_f32 v14, v21, v21 :: v_dual_bitop2_b32 v25, 1, v22 bitop3:0x40
	s_wait_xcnt 0x0
	v_dual_mul_f32 v30, v5, v5 :: v_dual_bitop2_b32 v31, 1, v8 bitop3:0x40
	v_fmaak_f32 v46, s28, v34, 0x3c0881c4
	s_delay_alu instid0(VALU_DEP_3) | instskip(SKIP_1) | instid1(VALU_DEP_4)
	v_fmaak_f32 v36, s28, v14, 0x3c0881c4
	v_dual_lshlrev_b32 v22, 30, v22 :: v_dual_mul_f32 v26, v17, v17
	v_fmaak_f32 v42, s28, v30, 0x3c0881c4
	s_delay_alu instid0(VALU_DEP_4) | instskip(SKIP_2) | instid1(VALU_DEP_4)
	v_fmaak_f32 v46, v34, v46, 0xbe2aaa9d
	v_fmaak_f32 v45, s29, v32, 0xbab64f3b
	v_dual_mul_f32 v28, v10, v10 :: v_dual_bitop2_b32 v27, 1, v19 bitop3:0x40
	v_fmaak_f32 v42, v30, v42, 0xbe2aaa9d
	s_delay_alu instid0(VALU_DEP_4) | instskip(SKIP_2) | instid1(VALU_DEP_4)
	v_mul_f32_e32 v46, v34, v46
	v_fmaak_f32 v36, v14, v36, 0xbe2aaa9d
	v_fmaak_f32 v45, v32, v45, 0x3d2aabf7
	v_dual_fmaak_f32 v41, s29, v28, 0xbab64f3b :: v_dual_mul_f32 v42, v30, v42
	s_delay_alu instid0(VALU_DEP_4) | instskip(NEXT) | instid1(VALU_DEP_4)
	v_fmac_f32_e32 v23, v23, v46
	v_dual_fmaak_f32 v37, s29, v14, 0xbab64f3b :: v_dual_mul_f32 v36, v14, v36
	v_fmaak_f32 v38, s28, v26, 0x3c0881c4
	s_delay_alu instid0(VALU_DEP_4) | instskip(SKIP_1) | instid1(VALU_DEP_3)
	v_dual_fmaak_f32 v44, s28, v32, 0x3c0881c4 :: v_dual_fmac_f32 v5, v5, v42
	v_fmaak_f32 v45, v32, v45, 0xbf000004
	v_dual_fmac_f32 v21, v21, v36 :: v_dual_fmaak_f32 v38, v26, v38, 0xbe2aaa9d
	v_xor_b32_e32 v1, v1, v0
	s_delay_alu instid0(VALU_DEP_4)
	v_fmaak_f32 v44, v32, v44, 0xbe2aaa9d
	v_fmaak_f32 v43, s29, v30, 0xbab64f3b
	v_cmp_eq_u32_e32 vcc_lo, 0, v25
	v_mul_f32_e32 v38, v26, v38
	v_fmaak_f32 v40, s28, v28, 0x3c0881c4
	v_mul_f32_e32 v44, v32, v44
	v_fmaak_f32 v41, v28, v41, 0x3d2aabf7
	v_fma_f32 v32, v32, v45, 1.0
	s_delay_alu instid0(VALU_DEP_4) | instskip(NEXT) | instid1(VALU_DEP_4)
	v_dual_fmac_f32 v17, v17, v38 :: v_dual_fmaak_f32 v40, v28, v40, 0xbe2aaa9d
	v_dual_fmaak_f32 v39, s29, v26, 0xbab64f3b :: v_dual_fmac_f32 v2, v2, v44
	s_delay_alu instid0(VALU_DEP_4) | instskip(SKIP_1) | instid1(VALU_DEP_4)
	v_fmaak_f32 v41, v28, v41, 0xbf000004
	v_dual_lshlrev_b32 v16, 30, v16 :: v_dual_bitop2_b32 v29, 1, v16 bitop3:0x40
	v_dual_mul_f32 v40, v28, v40 :: v_dual_fmaak_f32 v47, s29, v34, 0xbab64f3b
	s_delay_alu instid0(VALU_DEP_3) | instskip(SKIP_2) | instid1(VALU_DEP_4)
	v_fma_f32 v28, v28, v41, 1.0
	v_fmaak_f32 v39, v26, v39, 0x3d2aabf7
	v_fmaak_f32 v43, v30, v43, 0x3d2aabf7
	v_fmac_f32_e32 v10, v10, v40
	v_fmaak_f32 v37, v14, v37, 0x3d2aabf7
	v_fmaak_f32 v47, v34, v47, 0x3d2aabf7
	;; [unrolled: 1-line block ×4, first 2 shown]
	v_dual_lshlrev_b32 v24, 30, v24 :: v_dual_bitop2_b32 v35, 1, v24 bitop3:0x40
	v_fmaak_f32 v37, v14, v37, 0xbf000004
	s_delay_alu instid0(VALU_DEP_4) | instskip(NEXT) | instid1(VALU_DEP_4)
	v_fma_f32 v26, v26, v39, 1.0
	v_fma_f32 v30, v30, v43, 1.0
	v_fmaak_f32 v47, v34, v47, 0xbf000004
	v_dual_lshlrev_b32 v19, 30, v19 :: v_dual_bitop2_b32 v20, v20, v18 bitop3:0x14
	v_fma_f32 v14, v14, v37, 1.0
	v_dual_lshlrev_b32 v8, 30, v8 :: v_dual_bitop2_b32 v9, v9, v6 bitop3:0x14
	s_delay_alu instid0(VALU_DEP_4) | instskip(SKIP_1) | instid1(VALU_DEP_4)
	v_fma_f32 v34, v34, v47, 1.0
	v_and_b32_e32 v4, 0x80000000, v4
	v_cndmask_b32_e32 v14, v14, v21, vcc_lo
	v_cmp_eq_u32_e32 vcc_lo, 0, v27
	v_and_b32_e32 v22, 0x80000000, v22
	v_and_b32_e32 v16, 0x80000000, v16
	v_cmp_class_f32_e64 s3, v0, 0x1f8
	v_cmp_class_f32_e64 s4, v6, 0x1f8
	v_cndmask_b32_e64 v17, -v17, v26, vcc_lo
	v_cmp_eq_u32_e32 vcc_lo, 0, v29
	v_xor3_b32 v14, v20, v22, v14
	v_add_nc_u64_e32 v[12:13], s[6:7], v[12:13]
	s_add_co_i32 s31, s30, 32
	v_bitop3_b32 v17, v19, v17, 0x80000000 bitop3:0x6c
	v_cndmask_b32_e32 v10, v28, v10, vcc_lo
	v_cmp_eq_u32_e32 vcc_lo, 0, v31
	s_add_co_i32 s30, s30, 48
	scratch_store_b32 off, v15, s5
	v_cndmask_b32_e64 v6, 0x7fc00000, v17, s4
	v_xor3_b32 v9, v9, v16, v10
	v_cndmask_b32_e64 v5, -v5, v30, vcc_lo
	v_cmp_eq_u32_e32 vcc_lo, 0, v33
	s_wait_xcnt 0x0
	s_add_co_i32 s5, s5, 4
	s_cmp_lg_u32 s30, 0x180
	v_bitop3_b32 v5, v8, v5, 0x80000000 bitop3:0x6c
	v_cndmask_b32_e32 v2, v32, v2, vcc_lo
	v_cmp_eq_u32_e32 vcc_lo, 0, v35
	s_delay_alu instid0(VALU_DEP_3) | instskip(NEXT) | instid1(VALU_DEP_3)
	v_cndmask_b32_e64 v17, 0x7fc00000, v5, s3
	v_xor3_b32 v1, v1, v4, v2
	v_cndmask_b32_e64 v21, -v23, v34, vcc_lo
	v_cmp_class_f32_e64 vcc_lo, v18, 0x1f8
	s_delay_alu instid0(VALU_DEP_4) | instskip(NEXT) | instid1(VALU_DEP_4)
	v_mov_b32_e32 v18, v17
	v_cndmask_b32_e64 v16, 0x7fc00000, v1, s3
	s_delay_alu instid0(VALU_DEP_4) | instskip(NEXT) | instid1(VALU_DEP_2)
	v_bitop3_b32 v0, v24, v21, 0x80000000 bitop3:0x6c
	v_dual_cndmask_b32 v2, 0x7fc00000, v14 :: v_dual_mov_b32 v19, v16
	s_delay_alu instid0(VALU_DEP_2) | instskip(SKIP_1) | instid1(VALU_DEP_3)
	v_cndmask_b32_e32 v10, 0x7fc00000, v0, vcc_lo
	v_cndmask_b32_e64 v0, 0x7fc00000, v9, s4
	v_mul_f32_e32 v4, v6, v2
	s_delay_alu instid0(VALU_DEP_3) | instskip(NEXT) | instid1(VALU_DEP_3)
	v_mul_f32_e32 v8, v6, v10
	v_pk_mul_f32 v[20:21], v[16:17], v[0:1] op_sel_hi:[1,0]
	v_xor_b32_e32 v0, 0x80000000, v0
	s_wait_loadcnt 0x2
	v_pk_mul_f32 v[18:19], v[18:19], v[10:11] op_sel_hi:[1,0]
	s_delay_alu instid0(VALU_DEP_3) | instskip(SKIP_4) | instid1(VALU_DEP_3)
	v_pk_mul_f32 v[24:25], v[20:21], v[10:11] op_sel_hi:[1,0]
	s_wait_loadcnt 0x0
	v_pk_mul_f32 v[22:23], v[16:17], v[2:3] op_sel_hi:[1,0]
	v_pk_mul_f32 v[28:29], v[20:21], v[2:3] op_sel_hi:[1,0]
	v_pk_mul_f32 v[16:17], v[16:17], v[6:7] op_sel_hi:[1,0]
	v_pk_fma_f32 v[26:27], v[20:21], v[10:11], v[22:23] op_sel:[0,0,1] op_sel_hi:[1,0,0]
	v_pk_fma_f32 v[20:21], v[20:21], v[2:3], v[18:19] op_sel_hi:[1,0,1] neg_lo:[0,0,1] neg_hi:[0,0,1]
	v_sub_f32_e32 v9, v24, v23
	v_add_f32_e32 v5, v28, v18
	s_delay_alu instid0(VALU_DEP_4) | instskip(NEXT) | instid1(VALU_DEP_4)
	v_dual_mov_b32 v1, v16 :: v_dual_mov_b32 v10, v27
	v_dual_mov_b32 v6, v21 :: v_dual_mov_b32 v2, v17
	s_clause 0x2
	scratch_store_b128 off, v[8:11], s31
	scratch_store_b128 off, v[4:7], s31 offset:16
	scratch_store_b128 off, v[0:3], s31 offset:32
	s_cbranch_scc0 .LBB3_26
.LBB3_2:                                ; =>This Inner Loop Header: Depth=1
	s_wait_xcnt 0x0
	s_delay_alu instid0(VALU_DEP_1)
	v_add_nc_u64_e32 v[0:1], s[12:13], v[12:13]
                                        ; implicit-def: $vgpr4
	global_load_b32 v0, v[0:1], off
	s_wait_loadcnt 0x0
	s_wait_xcnt 0x0
	v_and_b32_e32 v1, 0x7fffffff, v0
	v_cmp_ngt_f32_e64 s31, 0x48000000, |v0|
	s_delay_alu instid0(VALU_DEP_2) | instskip(SKIP_1) | instid1(VALU_DEP_2)
	v_lshrrev_b32_e32 v2, 23, v1
	v_and_or_b32 v14, v1, s27, 0x800000
	v_add_nc_u32_e32 v3, 0xffffff88, v2
                                        ; implicit-def: $vgpr2
	s_and_saveexec_b32 s3, s31
	s_delay_alu instid0(SALU_CYCLE_1)
	s_xor_b32 s33, exec_lo, s3
	s_cbranch_execz .LBB3_4
; %bb.3:                                ;   in Loop: Header=BB3_2 Depth=1
	v_mul_u64_e32 v[4:5], s[24:25], v[14:15]
	v_mov_b32_e32 v7, v15
	v_cmp_lt_u32_e32 vcc_lo, 63, v3
	v_mov_b32_e32 v21, v15
	v_cndmask_b32_e64 v2, 0, 0xffffffc0, vcc_lo
	s_delay_alu instid0(VALU_DEP_1) | instskip(NEXT) | instid1(VALU_DEP_1)
	v_add_nc_u32_e32 v2, v2, v3
	v_cmp_lt_u32_e64 s3, 31, v2
	v_mov_b32_e32 v6, v5
	s_delay_alu instid0(VALU_DEP_2) | instskip(NEXT) | instid1(VALU_DEP_2)
	v_cndmask_b32_e64 v5, 0, 0xffffffe0, s3
	v_mad_nc_u64_u32 v[6:7], 0x3c439041, v14, v[6:7]
	s_delay_alu instid0(VALU_DEP_2) | instskip(NEXT) | instid1(VALU_DEP_1)
	v_dual_mov_b32 v9, v15 :: v_dual_add_nc_u32 v2, v5, v2
	v_cmp_lt_u32_e64 s4, 31, v2
	s_delay_alu instid0(VALU_DEP_3) | instskip(NEXT) | instid1(VALU_DEP_2)
	v_mov_b32_e32 v8, v7
	v_cndmask_b32_e64 v5, 0, 0xffffffe0, s4
	s_delay_alu instid0(VALU_DEP_2) | instskip(NEXT) | instid1(VALU_DEP_1)
	v_mad_nc_u64_u32 v[8:9], 0xdb629599, v14, v[8:9]
	v_dual_mov_b32 v11, v15 :: v_dual_mov_b32 v10, v9
	s_delay_alu instid0(VALU_DEP_2) | instskip(NEXT) | instid1(VALU_DEP_2)
	v_cndmask_b32_e32 v4, v8, v4, vcc_lo
	v_mad_nc_u64_u32 v[10:11], 0xf534ddc0, v14, v[10:11]
	s_delay_alu instid0(VALU_DEP_1) | instskip(NEXT) | instid1(VALU_DEP_1)
	v_dual_mov_b32 v17, v15 :: v_dual_mov_b32 v16, v11
	v_mad_nc_u64_u32 v[16:17], 0xfc2757d1, v14, v[16:17]
	s_delay_alu instid0(VALU_DEP_1) | instskip(NEXT) | instid1(VALU_DEP_1)
	v_dual_mov_b32 v19, v15 :: v_dual_mov_b32 v18, v17
	v_mad_nc_u64_u32 v[18:19], 0x4e441529, v14, v[18:19]
	s_delay_alu instid0(VALU_DEP_1) | instskip(NEXT) | instid1(VALU_DEP_1)
	v_mov_b32_e32 v20, v19
	v_mad_nc_u64_u32 v[20:21], 0xa2f9836e, v14, v[20:21]
	s_delay_alu instid0(VALU_DEP_1) | instskip(NEXT) | instid1(VALU_DEP_2)
	v_dual_cndmask_b32 v7, v18, v10, vcc_lo :: v_dual_cndmask_b32 v9, v20, v16, vcc_lo
	v_dual_cndmask_b32 v11, v21, v18 :: v_dual_cndmask_b32 v16, v16, v8
	v_add_nc_u32_e32 v2, v5, v2
	s_delay_alu instid0(VALU_DEP_3) | instskip(NEXT) | instid1(VALU_DEP_3)
	v_dual_cndmask_b32 v5, v10, v6, vcc_lo :: v_dual_cndmask_b32 v6, v9, v7, s3
	v_cndmask_b32_e64 v9, v11, v9, s3
	s_delay_alu instid0(VALU_DEP_3) | instskip(NEXT) | instid1(VALU_DEP_3)
	v_dual_cndmask_b32 v7, v7, v16, s3 :: v_dual_sub_nc_u32 v10, 32, v2
	v_cndmask_b32_e64 v11, v16, v5, s3
	v_cmp_eq_u32_e32 vcc_lo, 0, v2
	s_delay_alu instid0(VALU_DEP_3) | instskip(NEXT) | instid1(VALU_DEP_1)
	v_dual_cndmask_b32 v9, v9, v6, s4 :: v_dual_cndmask_b32 v6, v6, v7, s4
	v_alignbit_b32 v16, v9, v6, v10
	s_delay_alu instid0(VALU_DEP_1) | instskip(NEXT) | instid1(VALU_DEP_1)
	v_dual_cndmask_b32 v7, v7, v11, s4 :: v_dual_cndmask_b32 v2, v16, v9, vcc_lo
	v_alignbit_b32 v8, v6, v7, v10
	s_delay_alu instid0(VALU_DEP_1) | instskip(NEXT) | instid1(VALU_DEP_3)
	v_dual_cndmask_b32 v4, v5, v4, s3 :: v_dual_cndmask_b32 v5, v8, v6, vcc_lo
	v_bfe_u32 v6, v2, 29, 1
	s_delay_alu instid0(VALU_DEP_2) | instskip(NEXT) | instid1(VALU_DEP_3)
	v_cndmask_b32_e64 v4, v11, v4, s4
	v_alignbit_b32 v8, v2, v5, 30
	s_delay_alu instid0(VALU_DEP_3) | instskip(NEXT) | instid1(VALU_DEP_3)
	v_sub_nc_u32_e32 v9, 0, v6
	v_alignbit_b32 v10, v7, v4, v10
	s_delay_alu instid0(VALU_DEP_1) | instskip(NEXT) | instid1(VALU_DEP_1)
	v_dual_cndmask_b32 v7, v10, v7, vcc_lo :: v_dual_bitop2_b32 v8, v8, v9 bitop3:0x14
	v_clz_i32_u32_e32 v10, v8
	s_delay_alu instid0(VALU_DEP_2) | instskip(SKIP_1) | instid1(VALU_DEP_3)
	v_alignbit_b32 v5, v5, v7, 30
	v_alignbit_b32 v4, v7, v4, 30
	v_min_u32_e32 v10, 32, v10
	s_delay_alu instid0(VALU_DEP_3) | instskip(NEXT) | instid1(VALU_DEP_3)
	v_xor_b32_e32 v5, v5, v9
	v_dual_lshrrev_b32 v9, 29, v2 :: v_dual_bitop2_b32 v4, v4, v9 bitop3:0x14
	s_delay_alu instid0(VALU_DEP_3) | instskip(NEXT) | instid1(VALU_DEP_1)
	v_dual_sub_nc_u32 v7, 31, v10 :: v_dual_lshlrev_b32 v11, 23, v10
	v_alignbit_b32 v8, v8, v5, v7
	s_delay_alu instid0(VALU_DEP_3) | instskip(NEXT) | instid1(VALU_DEP_4)
	v_alignbit_b32 v4, v5, v4, v7
	v_lshlrev_b32_e32 v5, 31, v9
	s_delay_alu instid0(VALU_DEP_2) | instskip(NEXT) | instid1(VALU_DEP_2)
	v_alignbit_b32 v7, v8, v4, 9
	v_dual_lshrrev_b32 v8, 9, v8 :: v_dual_bitop2_b32 v9, 0.5, v5 bitop3:0x54
	v_or_b32_e32 v5, 0x33000000, v5
	s_delay_alu instid0(VALU_DEP_3) | instskip(NEXT) | instid1(VALU_DEP_3)
	v_clz_i32_u32_e32 v16, v7
	v_sub_nc_u32_e32 v9, v9, v11
	s_delay_alu instid0(VALU_DEP_2) | instskip(NEXT) | instid1(VALU_DEP_1)
	v_min_u32_e32 v11, 32, v16
	v_add_lshl_u32 v10, v11, v10, 23
	s_delay_alu instid0(VALU_DEP_3) | instskip(SKIP_1) | instid1(VALU_DEP_2)
	v_or_b32_e32 v8, v8, v9
	v_not_b32_e32 v9, v11
	v_dual_mul_f32 v16, 0x3fc90fda, v8 :: v_dual_sub_nc_u32 v5, v5, v10
	s_delay_alu instid0(VALU_DEP_2) | instskip(NEXT) | instid1(VALU_DEP_2)
	v_alignbit_b32 v4, v7, v4, v9
	v_fma_f32 v7, 0x3fc90fda, v8, -v16
	s_delay_alu instid0(VALU_DEP_2) | instskip(NEXT) | instid1(VALU_DEP_2)
	v_lshrrev_b32_e32 v4, 9, v4
	v_fmac_f32_e32 v7, 0x33a22168, v8
	s_delay_alu instid0(VALU_DEP_2) | instskip(NEXT) | instid1(VALU_DEP_1)
	v_or_b32_e32 v4, v5, v4
	v_dual_fmac_f32 v7, 0x3fc90fda, v4 :: v_dual_lshrrev_b32 v4, 30, v2
	s_delay_alu instid0(VALU_DEP_1)
	v_dual_add_nc_u32 v4, v6, v4 :: v_dual_add_f32 v2, v16, v7
.LBB3_4:                                ;   in Loop: Header=BB3_2 Depth=1
	s_or_saveexec_b32 s3, s33
	v_mul_f32_e64 v5, 0x3f22f983, |v0|
	s_delay_alu instid0(VALU_DEP_1)
	v_rndne_f32_e32 v6, v5
	s_xor_b32 exec_lo, exec_lo, s3
; %bb.5:                                ;   in Loop: Header=BB3_2 Depth=1
	s_delay_alu instid0(VALU_DEP_1) | instskip(SKIP_1) | instid1(VALU_DEP_2)
	v_fma_f32 v2, 0xbfc90fda, v6, |v0|
	v_cvt_i32_f32_e32 v4, v6
	v_fmac_f32_e32 v2, 0xb3a22168, v6
	s_delay_alu instid0(VALU_DEP_1)
	v_fmac_f32_e32 v2, 0xa7c234c4, v6
; %bb.6:                                ;   in Loop: Header=BB3_2 Depth=1
	s_or_b32 exec_lo, exec_lo, s3
                                        ; implicit-def: $vgpr8
                                        ; implicit-def: $vgpr5
	s_and_saveexec_b32 s3, s31
	s_delay_alu instid0(SALU_CYCLE_1)
	s_xor_b32 s31, exec_lo, s3
	s_cbranch_execz .LBB3_8
; %bb.7:                                ;   in Loop: Header=BB3_2 Depth=1
	v_mul_u64_e32 v[6:7], s[24:25], v[14:15]
	v_mov_b32_e32 v9, v15
	v_cmp_lt_u32_e32 vcc_lo, 63, v3
	v_mov_b32_e32 v23, v15
	v_cndmask_b32_e64 v5, 0, 0xffffffc0, vcc_lo
	s_delay_alu instid0(VALU_DEP_1) | instskip(NEXT) | instid1(VALU_DEP_1)
	v_add_nc_u32_e32 v3, v5, v3
	v_cmp_lt_u32_e64 s3, 31, v3
	s_delay_alu instid0(VALU_DEP_1) | instskip(SKIP_1) | instid1(VALU_DEP_1)
	v_cndmask_b32_e64 v5, 0, 0xffffffe0, s3
	v_mov_b32_e32 v8, v7
	v_mad_nc_u64_u32 v[8:9], 0x3c439041, v14, v[8:9]
	s_delay_alu instid0(VALU_DEP_1) | instskip(NEXT) | instid1(VALU_DEP_1)
	v_dual_mov_b32 v11, v15 :: v_dual_mov_b32 v10, v9
	v_mad_nc_u64_u32 v[10:11], 0xdb629599, v14, v[10:11]
	s_delay_alu instid0(VALU_DEP_1) | instskip(NEXT) | instid1(VALU_DEP_1)
	v_dual_mov_b32 v17, v15 :: v_dual_mov_b32 v16, v11
	;; [unrolled: 3-line block ×4, first 2 shown]
	v_mad_nc_u64_u32 v[20:21], 0x4e441529, v14, v[20:21]
	s_delay_alu instid0(VALU_DEP_1) | instskip(NEXT) | instid1(VALU_DEP_1)
	v_dual_mov_b32 v22, v21 :: v_dual_cndmask_b32 v7, v20, v16
	v_mad_nc_u64_u32 v[22:23], 0xa2f9836e, v14, v[22:23]
	v_dual_cndmask_b32 v14, v18, v10 :: v_dual_add_nc_u32 v3, v5, v3
	s_delay_alu instid0(VALU_DEP_2) | instskip(NEXT) | instid1(VALU_DEP_2)
	v_dual_cndmask_b32 v11, v23, v20, vcc_lo :: v_dual_cndmask_b32 v9, v22, v18, vcc_lo
	v_cmp_lt_u32_e64 s4, 31, v3
	s_delay_alu instid0(VALU_DEP_1) | instskip(NEXT) | instid1(VALU_DEP_1)
	v_cndmask_b32_e64 v5, 0, 0xffffffe0, s4
	v_dual_add_nc_u32 v3, v5, v3 :: v_dual_cndmask_b32 v5, v16, v8, vcc_lo
	s_delay_alu instid0(VALU_DEP_4) | instskip(NEXT) | instid1(VALU_DEP_2)
	v_dual_cndmask_b32 v8, v9, v7, s3 :: v_dual_cndmask_b32 v9, v11, v9, s3
	v_dual_cndmask_b32 v7, v7, v14, s3 :: v_dual_sub_nc_u32 v11, 32, v3
	s_delay_alu instid0(VALU_DEP_2) | instskip(NEXT) | instid1(VALU_DEP_1)
	v_dual_cndmask_b32 v14, v14, v5, s3 :: v_dual_cndmask_b32 v9, v9, v8, s4
	v_dual_cndmask_b32 v8, v8, v7, s4 :: v_dual_cndmask_b32 v7, v7, v14, s4
	s_delay_alu instid0(VALU_DEP_1) | instskip(SKIP_2) | instid1(VALU_DEP_4)
	v_alignbit_b32 v16, v9, v8, v11
	v_cndmask_b32_e32 v6, v10, v6, vcc_lo
	v_cmp_eq_u32_e32 vcc_lo, 0, v3
	v_alignbit_b32 v10, v8, v7, v11
	s_delay_alu instid0(VALU_DEP_3) | instskip(NEXT) | instid1(VALU_DEP_2)
	v_dual_cndmask_b32 v3, v16, v9, vcc_lo :: v_dual_cndmask_b32 v5, v5, v6, s3
	v_cndmask_b32_e32 v6, v10, v8, vcc_lo
	s_delay_alu instid0(VALU_DEP_2) | instskip(NEXT) | instid1(VALU_DEP_3)
	v_bfe_u32 v8, v3, 29, 1
	v_cndmask_b32_e64 v5, v14, v5, s4
	s_delay_alu instid0(VALU_DEP_3) | instskip(NEXT) | instid1(VALU_DEP_3)
	v_alignbit_b32 v9, v3, v6, 30
	v_sub_nc_u32_e32 v10, 0, v8
	s_delay_alu instid0(VALU_DEP_3) | instskip(NEXT) | instid1(VALU_DEP_1)
	v_alignbit_b32 v11, v7, v5, v11
	v_dual_cndmask_b32 v7, v11, v7, vcc_lo :: v_dual_bitop2_b32 v9, v9, v10 bitop3:0x14
	s_delay_alu instid0(VALU_DEP_1) | instskip(NEXT) | instid1(VALU_DEP_2)
	v_clz_i32_u32_e32 v11, v9
	v_alignbit_b32 v6, v6, v7, 30
	v_alignbit_b32 v5, v7, v5, 30
	s_delay_alu instid0(VALU_DEP_3) | instskip(NEXT) | instid1(VALU_DEP_3)
	v_min_u32_e32 v11, 32, v11
	v_xor_b32_e32 v6, v6, v10
	s_delay_alu instid0(VALU_DEP_3) | instskip(SKIP_1) | instid1(VALU_DEP_4)
	v_dual_lshrrev_b32 v10, 29, v3 :: v_dual_bitop2_b32 v5, v5, v10 bitop3:0x14
	v_lshrrev_b32_e32 v3, 30, v3
	v_dual_sub_nc_u32 v7, 31, v11 :: v_dual_lshlrev_b32 v14, 23, v11
	s_delay_alu instid0(VALU_DEP_2) | instskip(NEXT) | instid1(VALU_DEP_2)
	v_add_nc_u32_e32 v8, v8, v3
	v_alignbit_b32 v9, v9, v6, v7
	v_alignbit_b32 v5, v6, v5, v7
	v_lshlrev_b32_e32 v6, 31, v10
	s_delay_alu instid0(VALU_DEP_2) | instskip(NEXT) | instid1(VALU_DEP_2)
	v_alignbit_b32 v7, v9, v5, 9
	v_dual_lshrrev_b32 v9, 9, v9 :: v_dual_bitop2_b32 v10, 0.5, v6 bitop3:0x54
	v_or_b32_e32 v6, 0x33000000, v6
	s_delay_alu instid0(VALU_DEP_3) | instskip(NEXT) | instid1(VALU_DEP_3)
	v_clz_i32_u32_e32 v16, v7
	v_sub_nc_u32_e32 v10, v10, v14
	s_delay_alu instid0(VALU_DEP_2) | instskip(NEXT) | instid1(VALU_DEP_1)
	v_min_u32_e32 v14, 32, v16
	v_add_lshl_u32 v11, v14, v11, 23
	s_delay_alu instid0(VALU_DEP_3) | instskip(SKIP_1) | instid1(VALU_DEP_3)
	v_or_b32_e32 v9, v9, v10
	v_not_b32_e32 v10, v14
	v_sub_nc_u32_e32 v6, v6, v11
	s_delay_alu instid0(VALU_DEP_3) | instskip(NEXT) | instid1(VALU_DEP_3)
	v_mul_f32_e32 v16, 0x3fc90fda, v9
	v_alignbit_b32 v5, v7, v5, v10
	s_delay_alu instid0(VALU_DEP_2) | instskip(NEXT) | instid1(VALU_DEP_2)
	v_fma_f32 v7, 0x3fc90fda, v9, -v16
	v_lshrrev_b32_e32 v5, 9, v5
	s_delay_alu instid0(VALU_DEP_2) | instskip(NEXT) | instid1(VALU_DEP_2)
	v_fmac_f32_e32 v7, 0x33a22168, v9
	v_or_b32_e32 v5, v6, v5
                                        ; implicit-def: $vgpr6
	s_delay_alu instid0(VALU_DEP_1) | instskip(NEXT) | instid1(VALU_DEP_1)
	v_fmac_f32_e32 v7, 0x3fc90fda, v5
	v_add_f32_e32 v5, v16, v7
	s_and_not1_saveexec_b32 s3, s31
	s_cbranch_execnz .LBB3_9
	s_branch .LBB3_10
.LBB3_8:                                ;   in Loop: Header=BB3_2 Depth=1
	s_and_not1_saveexec_b32 s3, s31
.LBB3_9:                                ;   in Loop: Header=BB3_2 Depth=1
	v_fma_f32 v5, 0xbfc90fda, v6, |v0|
	v_cvt_i32_f32_e32 v8, v6
	s_delay_alu instid0(VALU_DEP_2) | instskip(NEXT) | instid1(VALU_DEP_1)
	v_fmac_f32_e32 v5, 0xb3a22168, v6
	v_fmac_f32_e32 v5, 0xa7c234c4, v6
.LBB3_10:                               ;   in Loop: Header=BB3_2 Depth=1
	s_or_b32 exec_lo, exec_lo, s3
	v_add_nc_u64_e32 v[6:7], s[14:15], v[12:13]
                                        ; implicit-def: $vgpr16
                                        ; implicit-def: $vgpr10
	global_load_b32 v6, v[6:7], off
	s_wait_loadcnt 0x0
	v_and_b32_e32 v9, 0x7fffffff, v6
	v_cmp_ngt_f32_e64 s31, 0x48000000, |v6|
	s_delay_alu instid0(VALU_DEP_2) | instskip(SKIP_1) | instid1(VALU_DEP_2)
	v_lshrrev_b32_e32 v3, 23, v9
	v_and_or_b32 v14, v9, s27, 0x800000
	v_add_nc_u32_e32 v3, 0xffffff88, v3
	s_wait_xcnt 0x0
	s_and_saveexec_b32 s3, s31
	s_delay_alu instid0(SALU_CYCLE_1)
	s_xor_b32 s33, exec_lo, s3
	s_cbranch_execz .LBB3_12
; %bb.11:                               ;   in Loop: Header=BB3_2 Depth=1
	v_mul_u64_e32 v[10:11], s[24:25], v[14:15]
	v_mov_b32_e32 v17, v15
	v_cmp_lt_u32_e32 vcc_lo, 63, v3
	v_cndmask_b32_e64 v7, 0, 0xffffffc0, vcc_lo
	s_delay_alu instid0(VALU_DEP_4) | instskip(NEXT) | instid1(VALU_DEP_1)
	v_mov_b32_e32 v16, v11
	v_mad_nc_u64_u32 v[16:17], 0x3c439041, v14, v[16:17]
	s_delay_alu instid0(VALU_DEP_1) | instskip(NEXT) | instid1(VALU_DEP_1)
	v_dual_mov_b32 v19, v15 :: v_dual_mov_b32 v18, v17
	v_mad_nc_u64_u32 v[18:19], 0xdb629599, v14, v[18:19]
	s_delay_alu instid0(VALU_DEP_1) | instskip(NEXT) | instid1(VALU_DEP_2)
	v_dual_mov_b32 v21, v15 :: v_dual_mov_b32 v20, v19
	v_cndmask_b32_e32 v10, v18, v10, vcc_lo
	s_delay_alu instid0(VALU_DEP_2) | instskip(NEXT) | instid1(VALU_DEP_1)
	v_mad_nc_u64_u32 v[20:21], 0xf534ddc0, v14, v[20:21]
	v_dual_mov_b32 v23, v15 :: v_dual_mov_b32 v22, v21
	s_delay_alu instid0(VALU_DEP_1) | instskip(NEXT) | instid1(VALU_DEP_1)
	v_mad_nc_u64_u32 v[22:23], 0xfc2757d1, v14, v[22:23]
	v_dual_mov_b32 v25, v15 :: v_dual_mov_b32 v24, v23
	s_delay_alu instid0(VALU_DEP_1) | instskip(SKIP_1) | instid1(VALU_DEP_2)
	v_mad_nc_u64_u32 v[24:25], 0x4e441529, v14, v[24:25]
	v_add_nc_u32_e32 v7, v7, v3
	v_dual_mov_b32 v27, v15 :: v_dual_cndmask_b32 v17, v24, v20, vcc_lo
	s_delay_alu instid0(VALU_DEP_3) | instskip(NEXT) | instid1(VALU_DEP_3)
	v_mov_b32_e32 v26, v25
	v_cmp_lt_u32_e64 s3, 31, v7
	s_delay_alu instid0(VALU_DEP_2) | instskip(NEXT) | instid1(VALU_DEP_2)
	v_mad_nc_u64_u32 v[26:27], 0xa2f9836e, v14, v[26:27]
	v_cndmask_b32_e64 v11, 0, 0xffffffe0, s3
	s_delay_alu instid0(VALU_DEP_1) | instskip(NEXT) | instid1(VALU_DEP_1)
	v_dual_add_nc_u32 v7, v11, v7 :: v_dual_cndmask_b32 v19, v26, v22, vcc_lo
	v_cmp_lt_u32_e64 s4, 31, v7
	s_delay_alu instid0(VALU_DEP_4) | instskip(NEXT) | instid1(VALU_DEP_2)
	v_dual_cndmask_b32 v21, v27, v24 :: v_dual_cndmask_b32 v22, v22, v18
	v_cndmask_b32_e64 v11, 0, 0xffffffe0, s4
	s_delay_alu instid0(VALU_DEP_1) | instskip(NEXT) | instid1(VALU_DEP_3)
	v_dual_add_nc_u32 v7, v11, v7 :: v_dual_cndmask_b32 v11, v20, v16, vcc_lo
	v_dual_cndmask_b32 v16, v19, v17, s3 :: v_dual_cndmask_b32 v19, v21, v19, s3
	s_delay_alu instid0(VALU_DEP_2) | instskip(NEXT) | instid1(VALU_DEP_3)
	v_dual_cndmask_b32 v17, v17, v22, s3 :: v_dual_sub_nc_u32 v20, 32, v7
	v_cndmask_b32_e64 v21, v22, v11, s3
	v_cmp_eq_u32_e32 vcc_lo, 0, v7
	s_delay_alu instid0(VALU_DEP_3) | instskip(NEXT) | instid1(VALU_DEP_1)
	v_dual_cndmask_b32 v19, v19, v16, s4 :: v_dual_cndmask_b32 v16, v16, v17, s4
	v_alignbit_b32 v22, v19, v16, v20
	s_delay_alu instid0(VALU_DEP_1) | instskip(NEXT) | instid1(VALU_DEP_1)
	v_dual_cndmask_b32 v17, v17, v21, s4 :: v_dual_cndmask_b32 v7, v22, v19, vcc_lo
	v_alignbit_b32 v18, v16, v17, v20
	s_delay_alu instid0(VALU_DEP_1) | instskip(NEXT) | instid1(VALU_DEP_3)
	v_dual_cndmask_b32 v10, v11, v10, s3 :: v_dual_cndmask_b32 v11, v18, v16, vcc_lo
	v_bfe_u32 v16, v7, 29, 1
	s_delay_alu instid0(VALU_DEP_2) | instskip(NEXT) | instid1(VALU_DEP_3)
	v_cndmask_b32_e64 v10, v21, v10, s4
	v_alignbit_b32 v18, v7, v11, 30
	s_delay_alu instid0(VALU_DEP_3) | instskip(NEXT) | instid1(VALU_DEP_3)
	v_sub_nc_u32_e32 v19, 0, v16
	v_alignbit_b32 v20, v17, v10, v20
	s_delay_alu instid0(VALU_DEP_1) | instskip(NEXT) | instid1(VALU_DEP_1)
	v_dual_cndmask_b32 v17, v20, v17, vcc_lo :: v_dual_bitop2_b32 v18, v18, v19 bitop3:0x14
	v_clz_i32_u32_e32 v20, v18
	s_delay_alu instid0(VALU_DEP_2) | instskip(SKIP_1) | instid1(VALU_DEP_3)
	v_alignbit_b32 v11, v11, v17, 30
	v_alignbit_b32 v10, v17, v10, 30
	v_min_u32_e32 v20, 32, v20
	s_delay_alu instid0(VALU_DEP_3) | instskip(NEXT) | instid1(VALU_DEP_3)
	v_xor_b32_e32 v11, v11, v19
	v_xor_b32_e32 v10, v10, v19
	v_dual_lshrrev_b32 v19, 29, v7 :: v_dual_lshrrev_b32 v7, 30, v7
	s_delay_alu instid0(VALU_DEP_4) | instskip(NEXT) | instid1(VALU_DEP_2)
	v_dual_sub_nc_u32 v17, 31, v20 :: v_dual_lshlrev_b32 v21, 23, v20
	v_add_nc_u32_e32 v16, v16, v7
	s_delay_alu instid0(VALU_DEP_2) | instskip(SKIP_2) | instid1(VALU_DEP_2)
	v_alignbit_b32 v18, v18, v11, v17
	v_alignbit_b32 v10, v11, v10, v17
	v_lshlrev_b32_e32 v11, 31, v19
	v_alignbit_b32 v17, v18, v10, 9
	s_delay_alu instid0(VALU_DEP_2) | instskip(SKIP_1) | instid1(VALU_DEP_3)
	v_dual_lshrrev_b32 v18, 9, v18 :: v_dual_bitop2_b32 v19, 0.5, v11 bitop3:0x54
	v_or_b32_e32 v11, 0x33000000, v11
	v_clz_i32_u32_e32 v22, v17
	s_delay_alu instid0(VALU_DEP_3) | instskip(NEXT) | instid1(VALU_DEP_2)
	v_sub_nc_u32_e32 v19, v19, v21
	v_min_u32_e32 v21, 32, v22
	s_delay_alu instid0(VALU_DEP_1) | instskip(NEXT) | instid1(VALU_DEP_3)
	v_add_lshl_u32 v20, v21, v20, 23
	v_or_b32_e32 v18, v18, v19
	v_not_b32_e32 v19, v21
	s_delay_alu instid0(VALU_DEP_2) | instskip(NEXT) | instid1(VALU_DEP_2)
	v_dual_mul_f32 v22, 0x3fc90fda, v18 :: v_dual_sub_nc_u32 v11, v11, v20
	v_alignbit_b32 v10, v17, v10, v19
	s_delay_alu instid0(VALU_DEP_2) | instskip(NEXT) | instid1(VALU_DEP_2)
	v_fma_f32 v17, 0x3fc90fda, v18, -v22
	v_lshrrev_b32_e32 v10, 9, v10
	s_delay_alu instid0(VALU_DEP_2) | instskip(NEXT) | instid1(VALU_DEP_2)
	v_fmac_f32_e32 v17, 0x33a22168, v18
	v_or_b32_e32 v10, v11, v10
	s_delay_alu instid0(VALU_DEP_1) | instskip(NEXT) | instid1(VALU_DEP_1)
	v_fmac_f32_e32 v17, 0x3fc90fda, v10
	v_add_f32_e32 v10, v22, v17
.LBB3_12:                               ;   in Loop: Header=BB3_2 Depth=1
	s_or_saveexec_b32 s3, s33
	v_mul_f32_e64 v7, 0x3f22f983, |v6|
	s_delay_alu instid0(VALU_DEP_1)
	v_rndne_f32_e32 v7, v7
	s_xor_b32 exec_lo, exec_lo, s3
; %bb.13:                               ;   in Loop: Header=BB3_2 Depth=1
	s_delay_alu instid0(VALU_DEP_1) | instskip(SKIP_1) | instid1(VALU_DEP_2)
	v_fma_f32 v10, 0xbfc90fda, v7, |v6|
	v_cvt_i32_f32_e32 v16, v7
	v_fmac_f32_e32 v10, 0xb3a22168, v7
	s_delay_alu instid0(VALU_DEP_1)
	v_fmac_f32_e32 v10, 0xa7c234c4, v7
; %bb.14:                               ;   in Loop: Header=BB3_2 Depth=1
	s_or_b32 exec_lo, exec_lo, s3
                                        ; implicit-def: $vgpr19
                                        ; implicit-def: $vgpr17
	s_and_saveexec_b32 s3, s31
	s_delay_alu instid0(SALU_CYCLE_1)
	s_xor_b32 s31, exec_lo, s3
	s_cbranch_execz .LBB3_16
; %bb.15:                               ;   in Loop: Header=BB3_2 Depth=1
	v_mul_u64_e32 v[18:19], s[24:25], v[14:15]
	v_mov_b32_e32 v21, v15
	v_cmp_lt_u32_e32 vcc_lo, 63, v3
	v_cndmask_b32_e64 v7, 0, 0xffffffc0, vcc_lo
	s_delay_alu instid0(VALU_DEP_4) | instskip(NEXT) | instid1(VALU_DEP_1)
	v_mov_b32_e32 v20, v19
	v_mad_nc_u64_u32 v[20:21], 0x3c439041, v14, v[20:21]
	s_delay_alu instid0(VALU_DEP_1) | instskip(NEXT) | instid1(VALU_DEP_1)
	v_dual_mov_b32 v23, v15 :: v_dual_mov_b32 v22, v21
	v_mad_nc_u64_u32 v[22:23], 0xdb629599, v14, v[22:23]
	s_delay_alu instid0(VALU_DEP_1) | instskip(NEXT) | instid1(VALU_DEP_2)
	v_dual_mov_b32 v25, v15 :: v_dual_mov_b32 v24, v23
	v_cndmask_b32_e32 v18, v22, v18, vcc_lo
	s_delay_alu instid0(VALU_DEP_2) | instskip(NEXT) | instid1(VALU_DEP_1)
	v_mad_nc_u64_u32 v[24:25], 0xf534ddc0, v14, v[24:25]
	v_dual_mov_b32 v27, v15 :: v_dual_mov_b32 v26, v25
	s_delay_alu instid0(VALU_DEP_1) | instskip(NEXT) | instid1(VALU_DEP_1)
	v_mad_nc_u64_u32 v[26:27], 0xfc2757d1, v14, v[26:27]
	v_dual_mov_b32 v29, v15 :: v_dual_mov_b32 v28, v27
	s_delay_alu instid0(VALU_DEP_2) | instskip(NEXT) | instid1(VALU_DEP_2)
	v_cndmask_b32_e32 v19, v26, v22, vcc_lo
	v_mad_nc_u64_u32 v[28:29], 0x4e441529, v14, v[28:29]
	v_add_nc_u32_e32 v3, v7, v3
	s_delay_alu instid0(VALU_DEP_2) | instskip(NEXT) | instid1(VALU_DEP_3)
	v_dual_mov_b32 v31, v15 :: v_dual_cndmask_b32 v11, v28, v24, vcc_lo
	v_mov_b32_e32 v30, v29
	s_delay_alu instid0(VALU_DEP_3) | instskip(NEXT) | instid1(VALU_DEP_2)
	v_cmp_lt_u32_e64 s3, 31, v3
	v_mad_nc_u64_u32 v[30:31], 0xa2f9836e, v14, v[30:31]
	s_delay_alu instid0(VALU_DEP_2) | instskip(NEXT) | instid1(VALU_DEP_1)
	v_cndmask_b32_e64 v7, 0, 0xffffffe0, s3
	v_dual_cndmask_b32 v14, v30, v26 :: v_dual_add_nc_u32 v3, v7, v3
	s_delay_alu instid0(VALU_DEP_1) | instskip(NEXT) | instid1(VALU_DEP_4)
	v_cmp_lt_u32_e64 s4, 31, v3
	v_cndmask_b32_e32 v17, v31, v28, vcc_lo
	s_delay_alu instid0(VALU_DEP_2) | instskip(NEXT) | instid1(VALU_DEP_1)
	v_cndmask_b32_e64 v7, 0, 0xffffffe0, s4
	v_dual_add_nc_u32 v3, v7, v3 :: v_dual_cndmask_b32 v7, v24, v20, vcc_lo
	s_delay_alu instid0(VALU_DEP_3) | instskip(SKIP_1) | instid1(VALU_DEP_3)
	v_dual_cndmask_b32 v20, v14, v11, s3 :: v_dual_cndmask_b32 v14, v17, v14, s3
	v_cndmask_b32_e64 v11, v11, v19, s3
	v_sub_nc_u32_e32 v17, 32, v3
	v_cmp_eq_u32_e32 vcc_lo, 0, v3
	s_delay_alu instid0(VALU_DEP_3) | instskip(NEXT) | instid1(VALU_DEP_1)
	v_dual_cndmask_b32 v14, v14, v20, s4 :: v_dual_cndmask_b32 v20, v20, v11, s4
	v_alignbit_b32 v21, v14, v20, v17
	v_cndmask_b32_e64 v19, v19, v7, s3
	v_cndmask_b32_e64 v7, v7, v18, s3
	s_delay_alu instid0(VALU_DEP_2) | instskip(NEXT) | instid1(VALU_DEP_1)
	v_dual_cndmask_b32 v3, v21, v14, vcc_lo :: v_dual_cndmask_b32 v11, v11, v19, s4
	v_bfe_u32 v18, v3, 29, 1
	s_delay_alu instid0(VALU_DEP_2) | instskip(NEXT) | instid1(VALU_DEP_1)
	v_alignbit_b32 v22, v20, v11, v17
	v_dual_cndmask_b32 v7, v19, v7, s4 :: v_dual_cndmask_b32 v14, v22, v20, vcc_lo
	s_delay_alu instid0(VALU_DEP_3) | instskip(NEXT) | instid1(VALU_DEP_2)
	v_sub_nc_u32_e32 v20, 0, v18
	v_alignbit_b32 v17, v11, v7, v17
	s_delay_alu instid0(VALU_DEP_3) | instskip(NEXT) | instid1(VALU_DEP_1)
	v_alignbit_b32 v19, v3, v14, 30
	v_dual_cndmask_b32 v11, v17, v11, vcc_lo :: v_dual_bitop2_b32 v19, v19, v20 bitop3:0x14
	s_delay_alu instid0(VALU_DEP_1) | instskip(SKIP_1) | instid1(VALU_DEP_3)
	v_alignbit_b32 v14, v14, v11, 30
	v_alignbit_b32 v7, v11, v7, 30
	v_clz_i32_u32_e32 v17, v19
	s_delay_alu instid0(VALU_DEP_2) | instskip(NEXT) | instid1(VALU_DEP_2)
	v_xor_b32_e32 v7, v7, v20
	v_min_u32_e32 v17, 32, v17
	v_dual_lshrrev_b32 v20, 29, v3 :: v_dual_bitop2_b32 v11, v14, v20 bitop3:0x14
	s_delay_alu instid0(VALU_DEP_2) | instskip(SKIP_1) | instid1(VALU_DEP_2)
	v_dual_lshrrev_b32 v3, 30, v3 :: v_dual_sub_nc_u32 v14, 31, v17
	v_lshlrev_b32_e32 v21, 23, v17
	v_alignbit_b32 v19, v19, v11, v14
	v_alignbit_b32 v7, v11, v7, v14
	v_lshlrev_b32_e32 v11, 31, v20
	s_delay_alu instid0(VALU_DEP_2) | instskip(NEXT) | instid1(VALU_DEP_2)
	v_alignbit_b32 v14, v19, v7, 9
	v_or_b32_e32 v20, 0.5, v11
	v_lshrrev_b32_e32 v19, 9, v19
	v_or_b32_e32 v11, 0x33000000, v11
	s_delay_alu instid0(VALU_DEP_4) | instskip(NEXT) | instid1(VALU_DEP_4)
	v_clz_i32_u32_e32 v22, v14
	v_sub_nc_u32_e32 v20, v20, v21
	s_delay_alu instid0(VALU_DEP_2) | instskip(NEXT) | instid1(VALU_DEP_2)
	v_min_u32_e32 v21, 32, v22
	v_or_b32_e32 v19, v19, v20
	s_delay_alu instid0(VALU_DEP_2) | instskip(SKIP_1) | instid1(VALU_DEP_2)
	v_not_b32_e32 v20, v21
	v_add_lshl_u32 v17, v21, v17, 23
	v_alignbit_b32 v7, v14, v7, v20
	s_delay_alu instid0(VALU_DEP_1) | instskip(SKIP_1) | instid1(VALU_DEP_2)
	v_dual_sub_nc_u32 v11, v11, v17 :: v_dual_lshrrev_b32 v7, 9, v7
	v_mul_f32_e32 v22, 0x3fc90fda, v19
	v_or_b32_e32 v7, v11, v7
	s_delay_alu instid0(VALU_DEP_2) | instskip(NEXT) | instid1(VALU_DEP_1)
	v_fma_f32 v14, 0x3fc90fda, v19, -v22
	v_fmac_f32_e32 v14, 0x33a22168, v19
	v_add_nc_u32_e32 v19, v18, v3
	s_delay_alu instid0(VALU_DEP_2) | instskip(NEXT) | instid1(VALU_DEP_1)
	v_fmac_f32_e32 v14, 0x3fc90fda, v7
                                        ; implicit-def: $vgpr7
	v_add_f32_e32 v17, v22, v14
	s_and_not1_saveexec_b32 s3, s31
	s_cbranch_execnz .LBB3_17
	s_branch .LBB3_18
.LBB3_16:                               ;   in Loop: Header=BB3_2 Depth=1
	s_and_not1_saveexec_b32 s3, s31
.LBB3_17:                               ;   in Loop: Header=BB3_2 Depth=1
	v_fma_f32 v17, 0xbfc90fda, v7, |v6|
	v_cvt_i32_f32_e32 v19, v7
	s_delay_alu instid0(VALU_DEP_2) | instskip(NEXT) | instid1(VALU_DEP_1)
	v_fmac_f32_e32 v17, 0xb3a22168, v7
	v_fmac_f32_e32 v17, 0xa7c234c4, v7
.LBB3_18:                               ;   in Loop: Header=BB3_2 Depth=1
	s_or_b32 exec_lo, exec_lo, s3
	v_add_nc_u64_e32 v[20:21], s[16:17], v[12:13]
                                        ; implicit-def: $vgpr22
	global_load_b32 v18, v[20:21], off
                                        ; implicit-def: $vgpr21
	s_wait_loadcnt 0x0
	s_wait_xcnt 0x0
	v_and_b32_e32 v20, 0x7fffffff, v18
	v_cmp_ngt_f32_e64 s31, 0x48000000, |v18|
	s_delay_alu instid0(VALU_DEP_2) | instskip(SKIP_1) | instid1(VALU_DEP_2)
	v_lshrrev_b32_e32 v3, 23, v20
	v_and_or_b32 v14, v20, s27, 0x800000
	v_add_nc_u32_e32 v3, 0xffffff88, v3
	s_and_saveexec_b32 s3, s31
	s_delay_alu instid0(SALU_CYCLE_1)
	s_xor_b32 s33, exec_lo, s3
	s_cbranch_execz .LBB3_20
; %bb.19:                               ;   in Loop: Header=BB3_2 Depth=1
	v_mul_u64_e32 v[22:23], s[24:25], v[14:15]
	v_mov_b32_e32 v25, v15
	v_cmp_lt_u32_e32 vcc_lo, 63, v3
	v_cndmask_b32_e64 v7, 0, 0xffffffc0, vcc_lo
	s_delay_alu instid0(VALU_DEP_4) | instskip(NEXT) | instid1(VALU_DEP_1)
	v_mov_b32_e32 v24, v23
	v_mad_nc_u64_u32 v[24:25], 0x3c439041, v14, v[24:25]
	s_delay_alu instid0(VALU_DEP_1) | instskip(NEXT) | instid1(VALU_DEP_1)
	v_dual_mov_b32 v27, v15 :: v_dual_mov_b32 v26, v25
	v_mad_nc_u64_u32 v[26:27], 0xdb629599, v14, v[26:27]
	s_delay_alu instid0(VALU_DEP_1) | instskip(NEXT) | instid1(VALU_DEP_2)
	v_dual_mov_b32 v29, v15 :: v_dual_mov_b32 v28, v27
	v_cndmask_b32_e32 v22, v26, v22, vcc_lo
	s_delay_alu instid0(VALU_DEP_2) | instskip(NEXT) | instid1(VALU_DEP_1)
	v_mad_nc_u64_u32 v[28:29], 0xf534ddc0, v14, v[28:29]
	v_dual_mov_b32 v31, v15 :: v_dual_mov_b32 v30, v29
	s_delay_alu instid0(VALU_DEP_1) | instskip(NEXT) | instid1(VALU_DEP_1)
	v_mad_nc_u64_u32 v[30:31], 0xfc2757d1, v14, v[30:31]
	v_dual_mov_b32 v33, v15 :: v_dual_mov_b32 v32, v31
	s_delay_alu instid0(VALU_DEP_2) | instskip(NEXT) | instid1(VALU_DEP_2)
	v_cndmask_b32_e32 v27, v30, v26, vcc_lo
	v_mad_nc_u64_u32 v[32:33], 0x4e441529, v14, v[32:33]
	v_add_nc_u32_e32 v7, v7, v3
	s_delay_alu instid0(VALU_DEP_2) | instskip(NEXT) | instid1(VALU_DEP_3)
	v_dual_mov_b32 v35, v15 :: v_dual_cndmask_b32 v21, v32, v28, vcc_lo
	v_mov_b32_e32 v34, v33
	s_delay_alu instid0(VALU_DEP_3) | instskip(NEXT) | instid1(VALU_DEP_2)
	v_cmp_lt_u32_e64 s3, 31, v7
	v_mad_nc_u64_u32 v[34:35], 0xa2f9836e, v14, v[34:35]
	s_delay_alu instid0(VALU_DEP_2) | instskip(NEXT) | instid1(VALU_DEP_1)
	v_cndmask_b32_e64 v11, 0, 0xffffffe0, s3
	v_dual_add_nc_u32 v7, v11, v7 :: v_dual_cndmask_b32 v23, v34, v30, vcc_lo
	s_delay_alu instid0(VALU_DEP_1) | instskip(NEXT) | instid1(VALU_DEP_4)
	v_cmp_lt_u32_e64 s4, 31, v7
	v_cndmask_b32_e32 v25, v35, v32, vcc_lo
	s_delay_alu instid0(VALU_DEP_2) | instskip(NEXT) | instid1(VALU_DEP_1)
	v_cndmask_b32_e64 v11, 0, 0xffffffe0, s4
	v_dual_add_nc_u32 v7, v11, v7 :: v_dual_cndmask_b32 v11, v28, v24, vcc_lo
	s_delay_alu instid0(VALU_DEP_3) | instskip(SKIP_1) | instid1(VALU_DEP_3)
	v_dual_cndmask_b32 v24, v23, v21, s3 :: v_dual_cndmask_b32 v23, v25, v23, s3
	v_cndmask_b32_e64 v21, v21, v27, s3
	v_sub_nc_u32_e32 v25, 32, v7
	s_delay_alu instid0(VALU_DEP_4) | instskip(SKIP_1) | instid1(VALU_DEP_4)
	v_cndmask_b32_e64 v27, v27, v11, s3
	v_cmp_eq_u32_e32 vcc_lo, 0, v7
	v_dual_cndmask_b32 v23, v23, v24, s4 :: v_dual_cndmask_b32 v24, v24, v21, s4
	s_delay_alu instid0(VALU_DEP_3) | instskip(NEXT) | instid1(VALU_DEP_2)
	v_dual_cndmask_b32 v11, v11, v22, s3 :: v_dual_cndmask_b32 v21, v21, v27, s4
	v_alignbit_b32 v28, v23, v24, v25
	s_delay_alu instid0(VALU_DEP_2) | instskip(NEXT) | instid1(VALU_DEP_1)
	v_alignbit_b32 v26, v24, v21, v25
	v_dual_cndmask_b32 v7, v28, v23 :: v_dual_cndmask_b32 v22, v26, v24
	s_delay_alu instid0(VALU_DEP_1) | instskip(NEXT) | instid1(VALU_DEP_2)
	v_bfe_u32 v23, v7, 29, 1
	v_alignbit_b32 v24, v7, v22, 30
	s_delay_alu instid0(VALU_DEP_2) | instskip(NEXT) | instid1(VALU_DEP_1)
	v_sub_nc_u32_e32 v26, 0, v23
	v_dual_cndmask_b32 v11, v27, v11, s4 :: v_dual_bitop2_b32 v24, v24, v26 bitop3:0x14
	s_delay_alu instid0(VALU_DEP_1) | instskip(NEXT) | instid1(VALU_DEP_1)
	v_alignbit_b32 v25, v21, v11, v25
	v_cndmask_b32_e32 v21, v25, v21, vcc_lo
	s_delay_alu instid0(VALU_DEP_3) | instskip(NEXT) | instid1(VALU_DEP_2)
	v_clz_i32_u32_e32 v25, v24
	v_alignbit_b32 v22, v22, v21, 30
	s_delay_alu instid0(VALU_DEP_2) | instskip(SKIP_1) | instid1(VALU_DEP_2)
	v_min_u32_e32 v25, 32, v25
	v_alignbit_b32 v11, v21, v11, 30
	v_dual_sub_nc_u32 v22, 31, v25 :: v_dual_bitop2_b32 v21, v22, v26 bitop3:0x14
	s_delay_alu instid0(VALU_DEP_2) | instskip(SKIP_1) | instid1(VALU_DEP_3)
	v_dual_lshrrev_b32 v26, 29, v7 :: v_dual_bitop2_b32 v11, v11, v26 bitop3:0x14
	v_dual_lshlrev_b32 v27, 23, v25 :: v_dual_lshrrev_b32 v7, 30, v7
	v_alignbit_b32 v24, v24, v21, v22
	s_delay_alu instid0(VALU_DEP_3) | instskip(NEXT) | instid1(VALU_DEP_4)
	v_alignbit_b32 v11, v21, v11, v22
	v_lshlrev_b32_e32 v21, 31, v26
	s_delay_alu instid0(VALU_DEP_2) | instskip(NEXT) | instid1(VALU_DEP_2)
	v_alignbit_b32 v22, v24, v11, 9
	v_dual_lshrrev_b32 v24, 9, v24 :: v_dual_bitop2_b32 v26, 0.5, v21 bitop3:0x54
	v_or_b32_e32 v21, 0x33000000, v21
	s_delay_alu instid0(VALU_DEP_3) | instskip(NEXT) | instid1(VALU_DEP_3)
	v_clz_i32_u32_e32 v28, v22
	v_sub_nc_u32_e32 v26, v26, v27
	s_delay_alu instid0(VALU_DEP_2) | instskip(NEXT) | instid1(VALU_DEP_1)
	v_min_u32_e32 v27, 32, v28
	v_add_lshl_u32 v25, v27, v25, 23
	s_delay_alu instid0(VALU_DEP_1) | instskip(SKIP_1) | instid1(VALU_DEP_1)
	v_dual_sub_nc_u32 v21, v21, v25 :: v_dual_bitop2_b32 v24, v24, v26 bitop3:0x54
	v_not_b32_e32 v26, v27
	v_alignbit_b32 v11, v22, v11, v26
	s_delay_alu instid0(VALU_DEP_1) | instskip(NEXT) | instid1(VALU_DEP_1)
	v_dual_mul_f32 v28, 0x3fc90fda, v24 :: v_dual_lshrrev_b32 v11, 9, v11
	v_or_b32_e32 v11, v21, v11
	s_delay_alu instid0(VALU_DEP_2) | instskip(NEXT) | instid1(VALU_DEP_1)
	v_fma_f32 v22, 0x3fc90fda, v24, -v28
	v_fmac_f32_e32 v22, 0x33a22168, v24
	s_delay_alu instid0(VALU_DEP_1) | instskip(NEXT) | instid1(VALU_DEP_1)
	v_fmac_f32_e32 v22, 0x3fc90fda, v11
	v_dual_add_f32 v21, v28, v22 :: v_dual_add_nc_u32 v22, v23, v7
.LBB3_20:                               ;   in Loop: Header=BB3_2 Depth=1
	s_or_saveexec_b32 s3, s33
	v_mul_f32_e64 v7, 0x3f22f983, |v18|
	s_delay_alu instid0(VALU_DEP_1)
	v_rndne_f32_e32 v7, v7
	s_xor_b32 exec_lo, exec_lo, s3
; %bb.21:                               ;   in Loop: Header=BB3_2 Depth=1
	s_delay_alu instid0(VALU_DEP_1) | instskip(SKIP_1) | instid1(VALU_DEP_2)
	v_fma_f32 v21, 0xbfc90fda, v7, |v18|
	v_cvt_i32_f32_e32 v22, v7
	v_fmac_f32_e32 v21, 0xb3a22168, v7
	s_delay_alu instid0(VALU_DEP_1)
	v_fmac_f32_e32 v21, 0xa7c234c4, v7
; %bb.22:                               ;   in Loop: Header=BB3_2 Depth=1
	s_or_b32 exec_lo, exec_lo, s3
                                        ; implicit-def: $vgpr24
                                        ; implicit-def: $vgpr23
	s_and_saveexec_b32 s3, s31
	s_delay_alu instid0(SALU_CYCLE_1)
	s_xor_b32 s31, exec_lo, s3
	s_cbranch_execz .LBB3_24
; %bb.23:                               ;   in Loop: Header=BB3_2 Depth=1
	v_mul_u64_e32 v[24:25], s[24:25], v[14:15]
	v_mov_b32_e32 v27, v15
	v_cmp_lt_u32_e32 vcc_lo, 63, v3
	v_cndmask_b32_e64 v7, 0, 0xffffffc0, vcc_lo
	s_delay_alu instid0(VALU_DEP_4) | instskip(NEXT) | instid1(VALU_DEP_1)
	v_mov_b32_e32 v26, v25
	v_mad_nc_u64_u32 v[26:27], 0x3c439041, v14, v[26:27]
	s_delay_alu instid0(VALU_DEP_1) | instskip(NEXT) | instid1(VALU_DEP_1)
	v_dual_mov_b32 v29, v15 :: v_dual_mov_b32 v28, v27
	v_mad_nc_u64_u32 v[28:29], 0xdb629599, v14, v[28:29]
	s_delay_alu instid0(VALU_DEP_1) | instskip(NEXT) | instid1(VALU_DEP_1)
	v_dual_mov_b32 v31, v15 :: v_dual_mov_b32 v30, v29
	;; [unrolled: 3-line block ×3, first 2 shown]
	v_mad_nc_u64_u32 v[32:33], 0xfc2757d1, v14, v[32:33]
	s_delay_alu instid0(VALU_DEP_1) | instskip(NEXT) | instid1(VALU_DEP_2)
	v_dual_mov_b32 v35, v15 :: v_dual_mov_b32 v34, v33
	v_cndmask_b32_e32 v25, v32, v28, vcc_lo
	s_delay_alu instid0(VALU_DEP_2) | instskip(SKIP_1) | instid1(VALU_DEP_2)
	v_mad_nc_u64_u32 v[34:35], 0x4e441529, v14, v[34:35]
	v_add_nc_u32_e32 v3, v7, v3
	v_dual_mov_b32 v37, v15 :: v_dual_mov_b32 v36, v35
	s_delay_alu instid0(VALU_DEP_3) | instskip(NEXT) | instid1(VALU_DEP_3)
	v_cndmask_b32_e32 v11, v34, v30, vcc_lo
	v_cmp_lt_u32_e64 s3, 31, v3
	s_delay_alu instid0(VALU_DEP_3) | instskip(NEXT) | instid1(VALU_DEP_2)
	v_mad_nc_u64_u32 v[36:37], 0xa2f9836e, v14, v[36:37]
	v_cndmask_b32_e64 v7, 0, 0xffffffe0, s3
	s_delay_alu instid0(VALU_DEP_1) | instskip(NEXT) | instid1(VALU_DEP_1)
	v_dual_cndmask_b32 v14, v36, v32 :: v_dual_add_nc_u32 v3, v7, v3
	v_cmp_lt_u32_e64 s4, 31, v3
	s_delay_alu instid0(VALU_DEP_4) | instskip(NEXT) | instid1(VALU_DEP_2)
	v_cndmask_b32_e32 v23, v37, v34, vcc_lo
	v_cndmask_b32_e64 v7, 0, 0xffffffe0, s4
	s_delay_alu instid0(VALU_DEP_1) | instskip(NEXT) | instid1(VALU_DEP_3)
	v_dual_add_nc_u32 v3, v7, v3 :: v_dual_cndmask_b32 v7, v30, v26, vcc_lo
	v_dual_cndmask_b32 v26, v14, v11, s3 :: v_dual_cndmask_b32 v14, v23, v14, s3
	s_delay_alu instid0(VALU_DEP_2) | instskip(NEXT) | instid1(VALU_DEP_2)
	v_dual_cndmask_b32 v11, v11, v25, s3 :: v_dual_sub_nc_u32 v23, 32, v3
	v_dual_cndmask_b32 v25, v25, v7, s3 :: v_dual_cndmask_b32 v14, v14, v26, s4
	s_delay_alu instid0(VALU_DEP_1) | instskip(NEXT) | instid1(VALU_DEP_1)
	v_dual_cndmask_b32 v26, v26, v11, s4 :: v_dual_cndmask_b32 v11, v11, v25, s4
	v_alignbit_b32 v27, v14, v26, v23
	v_cndmask_b32_e32 v24, v28, v24, vcc_lo
	v_cmp_eq_u32_e32 vcc_lo, 0, v3
	s_delay_alu instid0(VALU_DEP_4) | instskip(NEXT) | instid1(VALU_DEP_4)
	v_alignbit_b32 v28, v26, v11, v23
	v_cndmask_b32_e32 v3, v27, v14, vcc_lo
	s_delay_alu instid0(VALU_DEP_2) | instskip(NEXT) | instid1(VALU_DEP_2)
	v_dual_cndmask_b32 v7, v7, v24, s3 :: v_dual_cndmask_b32 v14, v28, v26, vcc_lo
	v_bfe_u32 v24, v3, 29, 1
	s_delay_alu instid0(VALU_DEP_2) | instskip(NEXT) | instid1(VALU_DEP_3)
	v_cndmask_b32_e64 v7, v25, v7, s4
	v_alignbit_b32 v25, v3, v14, 30
	s_delay_alu instid0(VALU_DEP_3) | instskip(NEXT) | instid1(VALU_DEP_3)
	v_sub_nc_u32_e32 v26, 0, v24
	v_alignbit_b32 v23, v11, v7, v23
	s_delay_alu instid0(VALU_DEP_1) | instskip(NEXT) | instid1(VALU_DEP_1)
	v_dual_cndmask_b32 v11, v23, v11, vcc_lo :: v_dual_bitop2_b32 v25, v25, v26 bitop3:0x14
	v_clz_i32_u32_e32 v23, v25
	s_delay_alu instid0(VALU_DEP_2) | instskip(SKIP_1) | instid1(VALU_DEP_3)
	v_alignbit_b32 v14, v14, v11, 30
	v_alignbit_b32 v7, v11, v7, 30
	v_min_u32_e32 v23, 32, v23
	s_delay_alu instid0(VALU_DEP_3) | instskip(NEXT) | instid1(VALU_DEP_3)
	v_xor_b32_e32 v11, v14, v26
	v_dual_lshrrev_b32 v26, 29, v3 :: v_dual_bitop2_b32 v7, v7, v26 bitop3:0x14
	v_lshrrev_b32_e32 v3, 30, v3
	s_delay_alu instid0(VALU_DEP_4) | instskip(NEXT) | instid1(VALU_DEP_2)
	v_dual_sub_nc_u32 v14, 31, v23 :: v_dual_lshlrev_b32 v27, 23, v23
	v_add_nc_u32_e32 v24, v24, v3
	s_delay_alu instid0(VALU_DEP_2) | instskip(SKIP_2) | instid1(VALU_DEP_2)
	v_alignbit_b32 v25, v25, v11, v14
	v_alignbit_b32 v7, v11, v7, v14
	v_lshlrev_b32_e32 v11, 31, v26
	v_alignbit_b32 v14, v25, v7, 9
	s_delay_alu instid0(VALU_DEP_2) | instskip(SKIP_1) | instid1(VALU_DEP_3)
	v_dual_lshrrev_b32 v25, 9, v25 :: v_dual_bitop2_b32 v26, 0.5, v11 bitop3:0x54
	v_or_b32_e32 v11, 0x33000000, v11
	v_clz_i32_u32_e32 v28, v14
	s_delay_alu instid0(VALU_DEP_3) | instskip(NEXT) | instid1(VALU_DEP_2)
	v_sub_nc_u32_e32 v26, v26, v27
	v_min_u32_e32 v27, 32, v28
	s_delay_alu instid0(VALU_DEP_1) | instskip(NEXT) | instid1(VALU_DEP_3)
	v_add_lshl_u32 v23, v27, v23, 23
	v_or_b32_e32 v25, v25, v26
	v_not_b32_e32 v26, v27
	s_delay_alu instid0(VALU_DEP_3) | instskip(NEXT) | instid1(VALU_DEP_2)
	v_sub_nc_u32_e32 v11, v11, v23
	v_alignbit_b32 v7, v14, v7, v26
	s_delay_alu instid0(VALU_DEP_1) | instskip(NEXT) | instid1(VALU_DEP_1)
	v_dual_mul_f32 v28, 0x3fc90fda, v25 :: v_dual_lshrrev_b32 v7, 9, v7
	v_fma_f32 v14, 0x3fc90fda, v25, -v28
	s_delay_alu instid0(VALU_DEP_2) | instskip(NEXT) | instid1(VALU_DEP_2)
	v_or_b32_e32 v7, v11, v7
	v_fmac_f32_e32 v14, 0x33a22168, v25
	s_delay_alu instid0(VALU_DEP_1) | instskip(NEXT) | instid1(VALU_DEP_1)
	v_fmac_f32_e32 v14, 0x3fc90fda, v7
                                        ; implicit-def: $vgpr7
	v_add_f32_e32 v23, v28, v14
	s_and_not1_saveexec_b32 s3, s31
	s_cbranch_execz .LBB3_1
	s_branch .LBB3_25
.LBB3_24:                               ;   in Loop: Header=BB3_2 Depth=1
	s_and_not1_saveexec_b32 s3, s31
	s_cbranch_execz .LBB3_1
.LBB3_25:                               ;   in Loop: Header=BB3_2 Depth=1
	v_fma_f32 v23, 0xbfc90fda, v7, |v18|
	v_cvt_i32_f32_e32 v24, v7
	s_delay_alu instid0(VALU_DEP_2) | instskip(NEXT) | instid1(VALU_DEP_1)
	v_fmac_f32_e32 v23, 0xb3a22168, v7
	v_fmac_f32_e32 v23, 0xa7c234c4, v7
	s_branch .LBB3_1
.LBB3_26:
	s_clause 0xf
	scratch_load_b128 v[0:3], off, off offset:368
	scratch_load_b128 v[4:7], off, off offset:400
	;; [unrolled: 1-line block ×16, first 2 shown]
	s_clause 0x1
	s_load_b64 s[14:15], s[0:1], 0x0
	s_load_b128 s[4:7], s[0:1], 0x48
	s_clause 0x7
	scratch_load_b128 v[64:67], off, off offset:48
	scratch_load_b128 v[68:71], off, off offset:96
	;; [unrolled: 1-line block ×8, first 2 shown]
	s_add_nc_u64 s[8:9], s[8:9], 8
	s_mov_b32 s13, 0
	s_mov_b32 s12, 0x42340000
	s_wait_kmcnt 0x0
	s_max_i32 s17, s15, 1
	s_max_i32 s19, s14, 1
	s_wait_loadcnt 0x16
	v_dual_mov_b32 v96, v3 :: v_dual_mov_b32 v97, v7
	s_wait_loadcnt 0x13
	v_dual_mov_b32 v3, v6 :: v_dual_mov_b32 v104, v16
	s_wait_loadcnt 0x12
	v_mov_b32_e32 v105, v20
	scratch_store_b64 off, v[96:97], off offset:416 ; 8-byte Folded Spill
	s_wait_xcnt 0x0
	v_dual_mov_b32 v96, v0 :: v_dual_mov_b32 v97, v4
	v_dual_mov_b32 v4, v1 :: v_dual_mov_b32 v0, v11
	;; [unrolled: 1-line block ×3, first 2 shown]
	scratch_store_b64 off, v[96:97], off offset:424 ; 8-byte Folded Spill
	s_wait_loadcnt 0x11
	v_dual_mov_b32 v20, v17 :: v_dual_mov_b32 v108, v24
	s_wait_loadcnt 0x10
	v_mov_b32_e32 v109, v28
	scratch_store_b64 off, v[0:1], off offset:432 ; 8-byte Folded Spill
	s_wait_xcnt 0x0
	v_dual_mov_b32 v0, v8 :: v_dual_mov_b32 v1, v12
	v_dual_mov_b32 v12, v9 :: v_dual_mov_b32 v28, v25
	s_wait_loadcnt 0xe
	v_dual_mov_b32 v112, v32 :: v_dual_mov_b32 v113, v36
	scratch_store_b64 off, v[0:1], off offset:440 ; 8-byte Folded Spill
	s_wait_xcnt 0x0
	v_dual_mov_b32 v0, v19 :: v_dual_mov_b32 v1, v23
	v_dual_mov_b32 v19, v22 :: v_dual_mov_b32 v36, v33
	s_wait_loadcnt 0xc
	v_dual_mov_b32 v114, v40 :: v_dual_mov_b32 v115, v44
	scratch_store_b64 off, v[0:1], off offset:448 ; 8-byte Folded Spill
	s_wait_xcnt 0x0
	v_dual_mov_b32 v0, v27 :: v_dual_mov_b32 v1, v31
	v_dual_mov_b32 v27, v30 :: v_dual_mov_b32 v44, v41
	scratch_store_b64 off, v[0:1], off offset:456 ; 8-byte Folded Spill
	s_wait_xcnt 0x0
	v_dual_mov_b32 v0, v35 :: v_dual_mov_b32 v1, v39
	v_mov_b32_e32 v35, v38
	scratch_store_b64 off, v[0:1], off offset:464 ; 8-byte Folded Spill
	s_wait_xcnt 0x0
	v_dual_mov_b32 v0, v43 :: v_dual_mov_b32 v1, v47
	s_wait_loadcnt 0xb
	v_dual_mov_b32 v43, v46 :: v_dual_mov_b32 v46, v48
	s_wait_loadcnt 0xa
	v_dual_mov_b32 v47, v52 :: v_dual_mov_b32 v52, v49
	scratch_store_b64 off, v[0:1], off offset:472 ; 8-byte Folded Spill
	s_wait_xcnt 0x0
	v_dual_mov_b32 v0, v51 :: v_dual_mov_b32 v1, v55
	s_wait_loadcnt 0x9
	v_dual_mov_b32 v51, v54 :: v_dual_mov_b32 v48, v59
	s_wait_loadcnt 0x8
	v_dual_mov_b32 v49, v63 :: v_dual_mov_b32 v54, v56
	v_mov_b32_e32 v55, v60
	s_clause 0x2
	scratch_store_b64 off, v[0:1], off offset:480
	scratch_load_b128 v[14:17], off, off
	scratch_load_b128 v[6:9], off, off offset:16
	v_dual_mov_b32 v60, v57 :: v_dual_mov_b32 v59, v62
.LBB3_27:                               ; =>This Loop Header: Depth=1
                                        ;     Child Loop BB3_28 Depth 2
	s_wait_xcnt 0x2
	v_mov_b32_e32 v0, s13
	s_clause 0x3
	scratch_load_b64 v[30:31], off, off offset:480
	scratch_load_b64 v[38:39], off, off offset:464
	;; [unrolled: 1-line block ×4, first 2 shown]
	global_load_b128 v[22:25], v0, s[10:11] scale_offset
	s_mov_b32 s25, s17
	s_mov_b64 s[14:15], s[8:9]
	s_wait_loadcnt 0x0
	v_pk_fma_f32 v[38:39], v[22:23], v[112:113], v[38:39] op_sel_hi:[0,1,1]
	v_fma_f32 v97, v22, v64, v67
	v_fma_f32 v98, v22, v92, v95
	v_fma_f32 v106, v22, v68, v71
	s_wait_xcnt 0x0
	v_pk_fma_f32 v[0:1], v[22:23], v[54:55], v[48:49] op_sel_hi:[0,1,1]
	v_pk_fma_f32 v[100:101], v[22:23], v[36:37], v[38:39] op_sel:[1,0,0]
	scratch_load_b64 v[38:39], off, off offset:456 ; 8-byte Folded Reload
	v_fmac_f32_e32 v97, v23, v65
	v_pk_fma_f32 v[30:31], v[22:23], v[46:47], v[30:31] op_sel_hi:[0,1,1]
	v_pk_fma_f32 v[32:33], v[22:23], v[114:115], v[32:33] op_sel_hi:[0,1,1]
	v_dual_fmac_f32 v106, v23, v69 :: v_dual_fma_f32 v107, v22, v72, v75
	v_pk_fma_f32 v[0:1], v[22:23], v[60:61], v[0:1] op_sel:[1,0,0]
	s_delay_alu instid0(VALU_DEP_4) | instskip(NEXT) | instid1(VALU_DEP_4)
	v_pk_fma_f32 v[30:31], v[22:23], v[52:53], v[30:31] op_sel:[1,0,0]
	v_pk_fma_f32 v[32:33], v[22:23], v[44:45], v[32:33] op_sel:[1,0,0]
	s_delay_alu instid0(VALU_DEP_4) | instskip(SKIP_1) | instid1(VALU_DEP_4)
	v_dual_fmac_f32 v97, v24, v66 :: v_dual_fmac_f32 v107, v23, v73
	v_pk_fma_f32 v[118:119], v[24:25], v[34:35], v[100:101] op_sel_hi:[0,1,1]
	v_pk_fma_f32 v[62:63], v[24:25], v[50:51], v[30:31] op_sel_hi:[0,1,1]
	s_delay_alu instid0(VALU_DEP_4) | instskip(SKIP_3) | instid1(VALU_DEP_3)
	v_pk_fma_f32 v[116:117], v[24:25], v[42:43], v[32:33] op_sel_hi:[0,1,1]
	v_pk_fma_f32 v[56:57], v[22:23], v[104:105], v[40:41] op_sel_hi:[0,1,1]
	v_dual_fmac_f32 v107, v24, v74 :: v_dual_fmac_f32 v98, v23, v93
	v_dual_fma_f32 v111, v22, v80, v83 :: v_dual_fmac_f32 v106, v24, v70
	v_pk_fma_f32 v[122:123], v[22:23], v[20:21], v[56:57] op_sel:[1,0,0]
	s_clause 0x1
	scratch_load_b64 v[40:41], off, off offset:432
	scratch_load_b64 v[56:57], off, off offset:440
	v_dual_fmac_f32 v98, v24, v94 :: v_dual_fmac_f32 v111, v23, v81
	v_pk_fma_f32 v[122:123], v[24:25], v[18:19], v[122:123] op_sel_hi:[0,1,1]
	s_delay_alu instid0(VALU_DEP_2) | instskip(SKIP_2) | instid1(VALU_DEP_1)
	v_fmac_f32_e32 v111, v24, v82
	s_wait_loadcnt 0x2
	v_pk_fma_f32 v[38:39], v[22:23], v[108:109], v[38:39] op_sel_hi:[0,1,1]
	v_pk_fma_f32 v[102:103], v[22:23], v[28:29], v[38:39] op_sel:[1,0,0]
	v_fma_f32 v38, v22, v84, v87
	v_fma_f32 v110, v22, v76, v79
	s_delay_alu instid0(VALU_DEP_3) | instskip(NEXT) | instid1(VALU_DEP_3)
	v_pk_fma_f32 v[120:121], v[24:25], v[26:27], v[102:103] op_sel_hi:[0,1,1]
	v_fmac_f32_e32 v38, v23, v85
	s_delay_alu instid0(VALU_DEP_3) | instskip(NEXT) | instid1(VALU_DEP_2)
	v_dual_fmac_f32 v110, v23, v77 :: v_dual_fma_f32 v39, v22, v88, v91
	v_fmac_f32_e32 v38, v24, v86
	s_delay_alu instid0(VALU_DEP_2) | instskip(SKIP_2) | instid1(VALU_DEP_2)
	v_dual_fmac_f32 v110, v24, v78 :: v_dual_fmac_f32 v39, v23, v89
	s_wait_loadcnt 0x0
	v_pk_fma_f32 v[56:57], v[22:23], v[56:57], v[40:41] op_sel_hi:[0,1,1]
	v_fmac_f32_e32 v39, v24, v90
	s_delay_alu instid0(VALU_DEP_2)
	v_pk_fma_f32 v[124:125], v[22:23], v[12:13], v[56:57] op_sel:[1,0,0]
	s_clause 0x1
	scratch_load_b64 v[40:41], off, off offset:416
	scratch_load_b64 v[56:57], off, off offset:424
	v_pk_fma_f32 v[124:125], v[24:25], v[10:11], v[124:125] op_sel_hi:[0,1,1]
	s_wait_loadcnt 0x0
	v_pk_fma_f32 v[56:57], v[22:23], v[56:57], v[40:41] op_sel_hi:[0,1,1]
	s_delay_alu instid0(VALU_DEP_1) | instskip(SKIP_1) | instid1(VALU_DEP_2)
	v_pk_fma_f32 v[22:23], v[22:23], v[4:5], v[56:57] op_sel:[1,0,0]
	v_pk_fma_f32 v[56:57], v[24:25], v[58:59], v[0:1] op_sel_hi:[0,1,1]
	v_pk_fma_f32 v[126:127], v[24:25], v[2:3], v[22:23] op_sel_hi:[0,1,1]
	global_load_b128 v[22:25], v25, s[6:7] scale_offset
	s_wait_loadcnt 0x0
	v_readfirstlane_b32 s20, v24
	v_readfirstlane_b32 s0, v22
	s_cmp_gt_f32 s20, 0
	s_cselect_b32 s21, -1, 0
	s_cmp_eq_u32 s0, 0x46
	s_cselect_b32 s22, -1, 0
	s_cmp_eq_u32 s0, 0x45
	s_cselect_b32 s23, -1, 0
	s_cmp_lt_f32 s20, 0
	s_cselect_b32 s24, -1, 0
	s_delay_alu instid0(SALU_CYCLE_1)
	s_and_b32 s0, s24, exec_lo
	s_cselect_b32 s27, 0x40b00000, 1.0
	s_cselect_b32 s28, 1.0, 0xff7fffff
	s_xor_b32 s29, s20, 0x80000000
.LBB3_28:                               ;   Parent Loop BB3_27 Depth=1
                                        ; =>  This Inner Loop Header: Depth=2
	v_mov_b32_e32 v0, 0
	global_load_b128 v[30:33], v0, s[14:15] offset:-8
	s_wait_xcnt 0x0
	s_add_nc_u64 s[14:15], s[14:15], 16
	s_wait_loadcnt 0x0
	global_load_b128 v[100:103], v33, s[6:7] scale_offset
	s_wait_loadcnt 0x0
	v_add_f32_e32 v0, v23, v101
	v_readfirstlane_b32 s0, v100
	v_readfirstlane_b32 s1, v102
	v_mov_b32_e32 v102, v30
	s_delay_alu instid0(VALU_DEP_4)
	v_div_scale_f32 v1, null, v0, v0, 1.0
	s_cmp_eq_u32 s0, 0x46
	s_cselect_b32 s3, -1, 0
	v_xor_b32_e32 v22, 0x80000000, v1
	v_rcp_f32_e32 v1, v1
	s_and_b32 s3, s3, s22
	s_delay_alu instid0(SALU_CYCLE_1)
	s_and_b32 s3, s3, exec_lo
	s_cselect_b32 s34, 4.0, 2.0
	s_cselect_b32 s18, 0x3e800000, 0.5
	s_cmp_eq_u32 s0, 0x45
	v_nop
	v_fma_f32 v24, v22, v1, 1.0
	s_cselect_b32 s0, -1, 0
	s_delay_alu instid0(SALU_CYCLE_1) | instskip(SKIP_1) | instid1(VALU_DEP_1)
	s_or_b32 s33, s0, s23
	s_cmp_gt_f32 s1, 0
	v_fmac_f32_e32 v1, v24, v1
	v_div_scale_f32 v24, vcc_lo, 1.0, v0, 1.0
	s_cselect_b32 s0, -1, 0
	s_cmp_neq_f32 s1, 0
	s_wait_xcnt 0x0
	v_mul_f32_e32 v33, v24, v1
	s_cselect_b32 s30, -1, 0
	s_cmp_lt_f32 s1, 0
	s_delay_alu instid0(VALU_DEP_1) | instskip(SKIP_1) | instid1(SALU_CYCLE_1)
	v_fma_f32 v40, v22, v33, v24
	s_cselect_b32 s3, -1, 0
	s_and_b32 s16, s3, exec_lo
	s_delay_alu instid0(VALU_DEP_1)
	v_fmac_f32_e32 v33, v40, v1
	s_cselect_b32 s31, s27, s28
	s_and_b32 s3, s3, s21
	s_xor_b32 s16, s1, 0x80000000
	s_and_b32 s3, s3, exec_lo
	v_fmac_f32_e32 v24, v22, v33
	s_cselect_b32 s1, s16, s1
	s_and_b32 s0, s0, s24
	s_delay_alu instid0(SALU_CYCLE_1) | instskip(NEXT) | instid1(VALU_DEP_1)
	s_and_b32 s0, s0, exec_lo
	v_div_fmas_f32 v1, v24, v1, v33
	s_cselect_b32 s0, s29, s20
	s_add_co_i32 s25, s25, -1
	s_add_f32 s16, s1, s0
	s_delay_alu instid0(VALU_DEP_1) | instskip(SKIP_1) | instid1(VALU_DEP_1)
	v_div_fixup_f32 v96, v1, v0, 1.0
	v_div_scale_f32 v1, null, s31, s31, 1.0
	v_xor_b32_e32 v22, 0x80000000, v1
	v_rcp_f32_e32 v1, v1
	v_nop
	s_delay_alu instid0(TRANS32_DEP_1) | instskip(NEXT) | instid1(VALU_DEP_1)
	v_fma_f32 v24, v22, v1, 1.0
	v_fmac_f32_e32 v1, v24, v1
	v_div_scale_f32 v24, vcc_lo, 1.0, s31, 1.0
	s_delay_alu instid0(VALU_DEP_1) | instskip(NEXT) | instid1(VALU_DEP_1)
	v_mul_f32_e32 v33, v24, v1
	v_fma_f32 v40, v22, v33, v24
	s_delay_alu instid0(VALU_DEP_1) | instskip(NEXT) | instid1(VALU_DEP_1)
	v_fmac_f32_e32 v33, v40, v1
	v_fmac_f32_e32 v24, v22, v33
	s_delay_alu instid0(VALU_DEP_1) | instskip(SKIP_1) | instid1(VALU_DEP_2)
	v_div_fmas_f32 v1, v24, v1, v33
	v_dual_mul_f32 v24, v25, v103 :: v_dual_mov_b32 v103, v32
	v_div_fixup_f32 v22, v1, s31, 1.0
	v_sub_f32_e32 v1, v97, v31
	s_delay_alu instid0(VALU_DEP_3) | instskip(NEXT) | instid1(VALU_DEP_1)
	v_pk_add_f32 v[32:33], v[56:57], v[102:103] neg_lo:[0,1] neg_hi:[0,1]
	v_pk_mul_f32 v[32:33], v[32:33], v[32:33]
	s_delay_alu instid0(VALU_DEP_1) | instskip(NEXT) | instid1(VALU_DEP_1)
	v_fma_f32 v1, v1, v1, v32
	v_add_f32_e32 v1, v1, v33
	v_pk_add_f32 v[100:101], v[62:63], v[102:103] neg_lo:[0,1] neg_hi:[0,1]
	s_delay_alu instid0(VALU_DEP_2) | instskip(SKIP_1) | instid1(VALU_DEP_3)
	v_cmp_gt_f32_e32 vcc_lo, 0xf800000, v1
	v_mul_f32_e32 v30, 0x4f800000, v1
	v_pk_mul_f32 v[100:101], v[100:101], v[100:101]
	s_delay_alu instid0(VALU_DEP_2) | instskip(NEXT) | instid1(VALU_DEP_1)
	v_cndmask_b32_e32 v1, v1, v30, vcc_lo
	v_sqrt_f32_e32 v30, v1
	v_nop
	s_delay_alu instid0(TRANS32_DEP_1) | instskip(NEXT) | instid1(VALU_DEP_1)
	v_add_nc_u32_e32 v32, -1, v30
	v_fma_f32 v33, -v32, v30, v1
	s_delay_alu instid0(VALU_DEP_1) | instskip(NEXT) | instid1(VALU_DEP_1)
	v_cmp_ge_f32_e64 s0, 0, v33
	v_dual_add_nc_u32 v33, 1, v30 :: v_dual_cndmask_b32 v32, v30, v32, s0
	s_delay_alu instid0(VALU_DEP_1) | instskip(NEXT) | instid1(VALU_DEP_1)
	v_fma_f32 v30, -v33, v30, v1
	v_cmp_lt_f32_e64 s0, 0, v30
	s_delay_alu instid0(VALU_DEP_1) | instskip(NEXT) | instid1(VALU_DEP_1)
	v_cndmask_b32_e64 v30, v32, v33, s0
	v_mul_f32_e32 v32, 0x37800000, v30
	s_delay_alu instid0(VALU_DEP_1) | instskip(SKIP_1) | instid1(VALU_DEP_2)
	v_cndmask_b32_e32 v30, v30, v32, vcc_lo
	v_cmp_class_f32_e64 vcc_lo, v1, 0x260
	v_cndmask_b32_e32 v32, v30, v1, vcc_lo
	v_sub_f32_e32 v1, v106, v31
	s_delay_alu instid0(VALU_DEP_1) | instskip(NEXT) | instid1(VALU_DEP_1)
	v_fma_f32 v1, v1, v1, v100
	v_add_f32_e32 v1, v1, v101
	s_delay_alu instid0(VALU_DEP_1) | instskip(SKIP_1) | instid1(VALU_DEP_1)
	v_cmp_gt_f32_e32 vcc_lo, 0xf800000, v1
	v_mul_f32_e32 v30, 0x4f800000, v1
	v_cndmask_b32_e32 v1, v1, v30, vcc_lo
	s_delay_alu instid0(VALU_DEP_1) | instskip(SKIP_1) | instid1(TRANS32_DEP_1)
	v_sqrt_f32_e32 v30, v1
	v_nop
	v_add_nc_u32_e32 v33, -1, v30
	s_delay_alu instid0(VALU_DEP_1) | instskip(NEXT) | instid1(VALU_DEP_1)
	v_fma_f32 v40, -v33, v30, v1
	v_cmp_ge_f32_e64 s0, 0, v40
	s_delay_alu instid0(VALU_DEP_1) | instskip(NEXT) | instid1(VALU_DEP_1)
	v_dual_add_nc_u32 v40, 1, v30 :: v_dual_cndmask_b32 v33, v30, v33, s0
	v_fma_f32 v30, -v40, v30, v1
	s_delay_alu instid0(VALU_DEP_1) | instskip(NEXT) | instid1(VALU_DEP_1)
	v_cmp_lt_f32_e64 s0, 0, v30
	v_cndmask_b32_e64 v30, v33, v40, s0
	s_delay_alu instid0(VALU_DEP_1) | instskip(NEXT) | instid1(VALU_DEP_1)
	v_mul_f32_e32 v33, 0x37800000, v30
	v_cndmask_b32_e32 v30, v30, v33, vcc_lo
	v_cmp_class_f32_e64 vcc_lo, v1, 0x260
	s_delay_alu instid0(VALU_DEP_2) | instskip(NEXT) | instid1(VALU_DEP_1)
	v_cndmask_b32_e32 v33, v30, v1, vcc_lo
	v_pk_add_f32 v[100:101], v[32:33], v[0:1] op_sel_hi:[1,0] neg_lo:[0,1] neg_hi:[0,1]
	v_pk_fma_f32 v[32:33], v[96:97], v[32:33], 1.0 op_sel_hi:[0,1,0] neg_lo:[1,0,0] neg_hi:[1,0,0]
	v_sub_f32_e32 v1, v107, v31
	s_delay_alu instid0(VALU_DEP_3) | instskip(NEXT) | instid1(VALU_DEP_4)
	v_cmp_gt_f32_e32 vcc_lo, 0, v100
	v_cmp_gt_f32_e64 s0, 0, v101
	v_cmp_gt_f32_e64 s1, s34, v100
	;; [unrolled: 1-line block ×3, first 2 shown]
	v_cndmask_b32_e64 v40, 0, 0x42980000, vcc_lo
	s_delay_alu instid0(VALU_DEP_4) | instskip(NEXT) | instid1(VALU_DEP_1)
	v_cndmask_b32_e64 v41, 0, 0x42980000, s0
	v_pk_fma_f32 v[14:15], v[32:33], v[40:41], v[14:15]
	v_pk_fma_f32 v[32:33], s[18:19], v[100:101], 1.0 op_sel_hi:[0,1,0] neg_lo:[1,0,0] neg_hi:[1,0,0]
	v_cndmask_b32_e64 v41, 0, 1.0, s3
	v_cndmask_b32_e64 v40, 0, 1.0, s1
	v_cmp_gt_f32_e64 s1, s31, v101
	v_cmp_gt_f32_e64 s3, s31, v100
	v_cndmask_b32_e64 v33, v33, 1.0, s0
	v_cndmask_b32_e64 v32, v32, 1.0, vcc_lo
	s_and_b32 s1, s30, s1
	s_and_b32 s3, s30, s3
	s_delay_alu instid0(VALU_DEP_1) | instskip(SKIP_2) | instid1(VALU_DEP_3)
	v_pk_mul_f32 v[32:33], v[40:41], v[32:33]
	v_cndmask_b32_e64 v41, 0, 1.0, s1
	v_cndmask_b32_e64 v40, 0, 1.0, s3
	v_pk_mul_f32 v[32:33], v[24:25], v[32:33] op_sel_hi:[0,1]
	s_delay_alu instid0(VALU_DEP_2) | instskip(NEXT) | instid1(VALU_DEP_2)
	v_pk_mul_f32 v[40:41], s[16:17], v[40:41] op_sel_hi:[0,1]
	v_cndmask_b32_e64 v33, v33, -|v33|, s33
	s_delay_alu instid0(VALU_DEP_3) | instskip(NEXT) | instid1(VALU_DEP_1)
	v_cndmask_b32_e64 v32, v32, -|v32|, s33
	v_pk_fma_f32 v[14:15], v[32:33], s[12:13], v[14:15] op_sel_hi:[1,0,1]
	v_pk_fma_f32 v[32:33], v[22:23], v[100:101], 1.0 op_sel_hi:[0,1,0] neg_lo:[1,0,0] neg_hi:[1,0,0]
	s_delay_alu instid0(VALU_DEP_1) | instskip(NEXT) | instid1(VALU_DEP_2)
	v_cndmask_b32_e64 v33, v33, 1.0, s0
	v_cndmask_b32_e64 v32, v32, 1.0, vcc_lo
	s_delay_alu instid0(VALU_DEP_1) | instskip(SKIP_2) | instid1(VALU_DEP_2)
	v_pk_fma_f32 v[14:15], v[32:33], v[40:41], v[14:15]
	v_pk_add_f32 v[32:33], v[116:117], v[102:103] neg_lo:[0,1] neg_hi:[0,1]
	v_pk_add_f32 v[40:41], v[118:119], v[102:103] neg_lo:[0,1] neg_hi:[0,1]
	v_pk_mul_f32 v[32:33], v[32:33], v[32:33]
	s_delay_alu instid0(VALU_DEP_2) | instskip(NEXT) | instid1(VALU_DEP_2)
	v_pk_mul_f32 v[40:41], v[40:41], v[40:41]
	v_fma_f32 v1, v1, v1, v32
	s_delay_alu instid0(VALU_DEP_1) | instskip(NEXT) | instid1(VALU_DEP_1)
	v_add_f32_e32 v1, v1, v33
	v_cmp_gt_f32_e32 vcc_lo, 0xf800000, v1
	v_mul_f32_e32 v30, 0x4f800000, v1
	s_delay_alu instid0(VALU_DEP_1) | instskip(NEXT) | instid1(VALU_DEP_1)
	v_cndmask_b32_e32 v1, v1, v30, vcc_lo
	v_sqrt_f32_e32 v30, v1
	v_nop
	s_delay_alu instid0(TRANS32_DEP_1) | instskip(NEXT) | instid1(VALU_DEP_1)
	v_add_nc_u32_e32 v32, -1, v30
	v_fma_f32 v33, -v32, v30, v1
	s_delay_alu instid0(VALU_DEP_1) | instskip(NEXT) | instid1(VALU_DEP_1)
	v_cmp_ge_f32_e64 s0, 0, v33
	v_dual_add_nc_u32 v33, 1, v30 :: v_dual_cndmask_b32 v32, v30, v32, s0
	s_delay_alu instid0(VALU_DEP_1) | instskip(NEXT) | instid1(VALU_DEP_1)
	v_fma_f32 v30, -v33, v30, v1
	v_cmp_lt_f32_e64 s0, 0, v30
	s_delay_alu instid0(VALU_DEP_1) | instskip(NEXT) | instid1(VALU_DEP_1)
	v_cndmask_b32_e64 v30, v32, v33, s0
	v_mul_f32_e32 v32, 0x37800000, v30
	s_delay_alu instid0(VALU_DEP_1) | instskip(SKIP_1) | instid1(VALU_DEP_2)
	v_cndmask_b32_e32 v30, v30, v32, vcc_lo
	v_cmp_class_f32_e64 vcc_lo, v1, 0x260
	v_cndmask_b32_e32 v32, v30, v1, vcc_lo
	v_sub_f32_e32 v1, v110, v31
	s_delay_alu instid0(VALU_DEP_1) | instskip(NEXT) | instid1(VALU_DEP_1)
	v_fma_f32 v1, v1, v1, v40
	v_add_f32_e32 v1, v1, v41
	s_delay_alu instid0(VALU_DEP_1) | instskip(SKIP_1) | instid1(VALU_DEP_1)
	v_cmp_gt_f32_e32 vcc_lo, 0xf800000, v1
	v_mul_f32_e32 v30, 0x4f800000, v1
	v_cndmask_b32_e32 v1, v1, v30, vcc_lo
	s_delay_alu instid0(VALU_DEP_1) | instskip(SKIP_1) | instid1(TRANS32_DEP_1)
	v_sqrt_f32_e32 v30, v1
	v_nop
	v_add_nc_u32_e32 v33, -1, v30
	s_delay_alu instid0(VALU_DEP_1) | instskip(NEXT) | instid1(VALU_DEP_1)
	v_fma_f32 v40, -v33, v30, v1
	v_cmp_ge_f32_e64 s0, 0, v40
	s_delay_alu instid0(VALU_DEP_1) | instskip(NEXT) | instid1(VALU_DEP_1)
	v_dual_add_nc_u32 v40, 1, v30 :: v_dual_cndmask_b32 v33, v30, v33, s0
	v_fma_f32 v30, -v40, v30, v1
	s_delay_alu instid0(VALU_DEP_1) | instskip(NEXT) | instid1(VALU_DEP_1)
	v_cmp_lt_f32_e64 s0, 0, v30
	v_cndmask_b32_e64 v30, v33, v40, s0
	s_delay_alu instid0(VALU_DEP_1) | instskip(NEXT) | instid1(VALU_DEP_1)
	v_mul_f32_e32 v33, 0x37800000, v30
	v_cndmask_b32_e32 v30, v30, v33, vcc_lo
	v_cmp_class_f32_e64 vcc_lo, v1, 0x260
	s_delay_alu instid0(VALU_DEP_2) | instskip(NEXT) | instid1(VALU_DEP_1)
	v_cndmask_b32_e32 v33, v30, v1, vcc_lo
	v_pk_add_f32 v[40:41], v[32:33], v[0:1] op_sel_hi:[1,0] neg_lo:[0,1] neg_hi:[0,1]
	v_pk_fma_f32 v[32:33], v[96:97], v[32:33], 1.0 op_sel_hi:[0,1,0] neg_lo:[1,0,0] neg_hi:[1,0,0]
	v_sub_f32_e32 v1, v111, v31
	s_delay_alu instid0(VALU_DEP_3) | instskip(NEXT) | instid1(VALU_DEP_4)
	v_cmp_gt_f32_e32 vcc_lo, 0, v40
	v_cmp_gt_f32_e64 s0, 0, v41
	v_cmp_gt_f32_e64 s1, s34, v40
	;; [unrolled: 1-line block ×3, first 2 shown]
	v_cndmask_b32_e64 v100, 0, 0x42980000, vcc_lo
	s_delay_alu instid0(VALU_DEP_4) | instskip(NEXT) | instid1(VALU_DEP_1)
	v_cndmask_b32_e64 v101, 0, 0x42980000, s0
	v_pk_fma_f32 v[16:17], v[32:33], v[100:101], v[16:17]
	v_pk_fma_f32 v[32:33], s[18:19], v[40:41], 1.0 op_sel_hi:[0,1,0] neg_lo:[1,0,0] neg_hi:[1,0,0]
	v_cndmask_b32_e64 v101, 0, 1.0, s3
	v_cndmask_b32_e64 v100, 0, 1.0, s1
	v_cmp_gt_f32_e64 s1, s31, v41
	v_cmp_gt_f32_e64 s3, s31, v40
	v_cndmask_b32_e64 v33, v33, 1.0, s0
	v_cndmask_b32_e64 v32, v32, 1.0, vcc_lo
	s_and_b32 s1, s30, s1
	s_and_b32 s3, s30, s3
	s_delay_alu instid0(VALU_DEP_1) | instskip(NEXT) | instid1(VALU_DEP_1)
	v_pk_mul_f32 v[32:33], v[100:101], v[32:33]
	v_pk_mul_f32 v[32:33], v[24:25], v[32:33] op_sel_hi:[0,1]
	s_delay_alu instid0(VALU_DEP_1) | instskip(NEXT) | instid1(VALU_DEP_2)
	v_cndmask_b32_e64 v33, v33, -|v33|, s33
	v_cndmask_b32_e64 v32, v32, -|v32|, s33
	s_delay_alu instid0(VALU_DEP_1) | instskip(SKIP_3) | instid1(VALU_DEP_3)
	v_pk_fma_f32 v[16:17], v[32:33], s[12:13], v[16:17] op_sel_hi:[1,0,1]
	v_pk_fma_f32 v[32:33], v[22:23], v[40:41], 1.0 op_sel_hi:[0,1,0] neg_lo:[1,0,0] neg_hi:[1,0,0]
	v_cndmask_b32_e64 v41, 0, 1.0, s1
	v_cndmask_b32_e64 v40, 0, 1.0, s3
	;; [unrolled: 1-line block ×3, first 2 shown]
	s_delay_alu instid0(VALU_DEP_4) | instskip(NEXT) | instid1(VALU_DEP_3)
	v_cndmask_b32_e64 v32, v32, 1.0, vcc_lo
	v_pk_mul_f32 v[40:41], s[16:17], v[40:41] op_sel_hi:[0,1]
	s_delay_alu instid0(VALU_DEP_1) | instskip(SKIP_2) | instid1(VALU_DEP_2)
	v_pk_fma_f32 v[16:17], v[32:33], v[40:41], v[16:17]
	v_pk_add_f32 v[32:33], v[120:121], v[102:103] neg_lo:[0,1] neg_hi:[0,1]
	v_pk_add_f32 v[40:41], v[122:123], v[102:103] neg_lo:[0,1] neg_hi:[0,1]
	v_pk_mul_f32 v[32:33], v[32:33], v[32:33]
	s_delay_alu instid0(VALU_DEP_2) | instskip(NEXT) | instid1(VALU_DEP_2)
	v_pk_mul_f32 v[40:41], v[40:41], v[40:41]
	v_fma_f32 v1, v1, v1, v32
	s_delay_alu instid0(VALU_DEP_1) | instskip(NEXT) | instid1(VALU_DEP_1)
	v_add_f32_e32 v1, v1, v33
	v_cmp_gt_f32_e32 vcc_lo, 0xf800000, v1
	v_mul_f32_e32 v30, 0x4f800000, v1
	s_delay_alu instid0(VALU_DEP_1) | instskip(NEXT) | instid1(VALU_DEP_1)
	v_cndmask_b32_e32 v1, v1, v30, vcc_lo
	v_sqrt_f32_e32 v30, v1
	v_nop
	s_delay_alu instid0(TRANS32_DEP_1) | instskip(NEXT) | instid1(VALU_DEP_1)
	v_add_nc_u32_e32 v32, -1, v30
	v_fma_f32 v33, -v32, v30, v1
	s_delay_alu instid0(VALU_DEP_1) | instskip(NEXT) | instid1(VALU_DEP_1)
	v_cmp_ge_f32_e64 s0, 0, v33
	v_dual_add_nc_u32 v33, 1, v30 :: v_dual_cndmask_b32 v32, v30, v32, s0
	s_delay_alu instid0(VALU_DEP_1) | instskip(NEXT) | instid1(VALU_DEP_1)
	v_fma_f32 v30, -v33, v30, v1
	v_cmp_lt_f32_e64 s0, 0, v30
	s_delay_alu instid0(VALU_DEP_1) | instskip(NEXT) | instid1(VALU_DEP_1)
	v_cndmask_b32_e64 v30, v32, v33, s0
	v_mul_f32_e32 v32, 0x37800000, v30
	s_delay_alu instid0(VALU_DEP_1) | instskip(SKIP_1) | instid1(VALU_DEP_2)
	v_cndmask_b32_e32 v30, v30, v32, vcc_lo
	v_cmp_class_f32_e64 vcc_lo, v1, 0x260
	v_cndmask_b32_e32 v32, v30, v1, vcc_lo
	v_sub_f32_e32 v1, v38, v31
	s_delay_alu instid0(VALU_DEP_1) | instskip(NEXT) | instid1(VALU_DEP_1)
	v_fma_f32 v1, v1, v1, v40
	v_add_f32_e32 v1, v1, v41
	s_delay_alu instid0(VALU_DEP_1) | instskip(SKIP_1) | instid1(VALU_DEP_1)
	v_cmp_gt_f32_e32 vcc_lo, 0xf800000, v1
	v_mul_f32_e32 v30, 0x4f800000, v1
	v_cndmask_b32_e32 v1, v1, v30, vcc_lo
	s_delay_alu instid0(VALU_DEP_1) | instskip(SKIP_1) | instid1(TRANS32_DEP_1)
	v_sqrt_f32_e32 v30, v1
	v_nop
	v_add_nc_u32_e32 v33, -1, v30
	s_delay_alu instid0(VALU_DEP_1) | instskip(NEXT) | instid1(VALU_DEP_1)
	v_fma_f32 v40, -v33, v30, v1
	v_cmp_ge_f32_e64 s0, 0, v40
	s_delay_alu instid0(VALU_DEP_1) | instskip(NEXT) | instid1(VALU_DEP_1)
	v_dual_add_nc_u32 v40, 1, v30 :: v_dual_cndmask_b32 v33, v30, v33, s0
	v_fma_f32 v30, -v40, v30, v1
	s_delay_alu instid0(VALU_DEP_1) | instskip(NEXT) | instid1(VALU_DEP_1)
	v_cmp_lt_f32_e64 s0, 0, v30
	v_cndmask_b32_e64 v30, v33, v40, s0
	s_delay_alu instid0(VALU_DEP_1) | instskip(NEXT) | instid1(VALU_DEP_1)
	v_mul_f32_e32 v33, 0x37800000, v30
	v_cndmask_b32_e32 v30, v30, v33, vcc_lo
	v_cmp_class_f32_e64 vcc_lo, v1, 0x260
	s_delay_alu instid0(VALU_DEP_2) | instskip(NEXT) | instid1(VALU_DEP_1)
	v_cndmask_b32_e32 v33, v30, v1, vcc_lo
	v_pk_add_f32 v[40:41], v[32:33], v[0:1] op_sel_hi:[1,0] neg_lo:[0,1] neg_hi:[0,1]
	v_pk_fma_f32 v[32:33], v[96:97], v[32:33], 1.0 op_sel_hi:[0,1,0] neg_lo:[1,0,0] neg_hi:[1,0,0]
	v_sub_f32_e32 v1, v39, v31
	s_delay_alu instid0(VALU_DEP_3) | instskip(NEXT) | instid1(VALU_DEP_4)
	v_cmp_gt_f32_e32 vcc_lo, 0, v40
	v_cmp_gt_f32_e64 s0, 0, v41
	v_cmp_gt_f32_e64 s1, s34, v40
	v_cmp_gt_f32_e64 s3, s34, v41
	v_cndmask_b32_e64 v100, 0, 0x42980000, vcc_lo
	s_delay_alu instid0(VALU_DEP_4) | instskip(NEXT) | instid1(VALU_DEP_1)
	v_cndmask_b32_e64 v101, 0, 0x42980000, s0
	v_pk_fma_f32 v[6:7], v[32:33], v[100:101], v[6:7]
	v_pk_fma_f32 v[32:33], s[18:19], v[40:41], 1.0 op_sel_hi:[0,1,0] neg_lo:[1,0,0] neg_hi:[1,0,0]
	v_cndmask_b32_e64 v101, 0, 1.0, s3
	v_cndmask_b32_e64 v100, 0, 1.0, s1
	v_cmp_gt_f32_e64 s1, s31, v41
	v_cmp_gt_f32_e64 s3, s31, v40
	v_cndmask_b32_e64 v33, v33, 1.0, s0
	v_cndmask_b32_e64 v32, v32, 1.0, vcc_lo
	s_and_b32 s1, s30, s1
	s_and_b32 s3, s30, s3
	s_delay_alu instid0(VALU_DEP_1) | instskip(NEXT) | instid1(VALU_DEP_1)
	v_pk_mul_f32 v[32:33], v[100:101], v[32:33]
	v_pk_mul_f32 v[32:33], v[24:25], v[32:33] op_sel_hi:[0,1]
	s_delay_alu instid0(VALU_DEP_1) | instskip(NEXT) | instid1(VALU_DEP_2)
	v_cndmask_b32_e64 v33, v33, -|v33|, s33
	v_cndmask_b32_e64 v32, v32, -|v32|, s33
	s_delay_alu instid0(VALU_DEP_1) | instskip(SKIP_3) | instid1(VALU_DEP_3)
	v_pk_fma_f32 v[6:7], v[32:33], s[12:13], v[6:7] op_sel_hi:[1,0,1]
	v_pk_fma_f32 v[32:33], v[22:23], v[40:41], 1.0 op_sel_hi:[0,1,0] neg_lo:[1,0,0] neg_hi:[1,0,0]
	v_cndmask_b32_e64 v41, 0, 1.0, s1
	v_cndmask_b32_e64 v40, 0, 1.0, s3
	;; [unrolled: 1-line block ×3, first 2 shown]
	s_delay_alu instid0(VALU_DEP_4) | instskip(NEXT) | instid1(VALU_DEP_3)
	v_cndmask_b32_e64 v32, v32, 1.0, vcc_lo
	v_pk_mul_f32 v[40:41], s[16:17], v[40:41] op_sel_hi:[0,1]
	s_delay_alu instid0(VALU_DEP_1) | instskip(SKIP_1) | instid1(VALU_DEP_1)
	v_pk_fma_f32 v[6:7], v[32:33], v[40:41], v[6:7]
	v_pk_add_f32 v[32:33], v[124:125], v[102:103] neg_lo:[0,1] neg_hi:[0,1]
	v_pk_mul_f32 v[32:33], v[32:33], v[32:33]
	s_delay_alu instid0(VALU_DEP_1) | instskip(NEXT) | instid1(VALU_DEP_1)
	v_fma_f32 v1, v1, v1, v32
	v_add_f32_e32 v1, v1, v33
	s_delay_alu instid0(VALU_DEP_1) | instskip(SKIP_1) | instid1(VALU_DEP_1)
	v_cmp_gt_f32_e32 vcc_lo, 0xf800000, v1
	v_mul_f32_e32 v30, 0x4f800000, v1
	v_cndmask_b32_e32 v1, v1, v30, vcc_lo
	s_delay_alu instid0(VALU_DEP_1) | instskip(SKIP_1) | instid1(TRANS32_DEP_1)
	v_sqrt_f32_e32 v30, v1
	v_nop
	v_add_nc_u32_e32 v32, -1, v30
	s_delay_alu instid0(VALU_DEP_1) | instskip(NEXT) | instid1(VALU_DEP_1)
	v_fma_f32 v33, -v32, v30, v1
	v_cmp_ge_f32_e64 s0, 0, v33
	s_delay_alu instid0(VALU_DEP_1) | instskip(NEXT) | instid1(VALU_DEP_1)
	v_dual_add_nc_u32 v33, 1, v30 :: v_dual_cndmask_b32 v32, v30, v32, s0
	v_fma_f32 v30, -v33, v30, v1
	s_delay_alu instid0(VALU_DEP_1) | instskip(NEXT) | instid1(VALU_DEP_1)
	v_cmp_lt_f32_e64 s0, 0, v30
	v_cndmask_b32_e64 v30, v32, v33, s0
	s_delay_alu instid0(VALU_DEP_1) | instskip(NEXT) | instid1(VALU_DEP_1)
	v_mul_f32_e32 v32, 0x37800000, v30
	v_cndmask_b32_e32 v30, v30, v32, vcc_lo
	v_cmp_class_f32_e64 vcc_lo, v1, 0x260
	v_pk_add_f32 v[32:33], v[126:127], v[102:103] neg_lo:[0,1] neg_hi:[0,1]
	s_delay_alu instid0(VALU_DEP_3) | instskip(SKIP_1) | instid1(VALU_DEP_3)
	v_cndmask_b32_e32 v30, v30, v1, vcc_lo
	v_sub_f32_e32 v1, v98, v31
	v_pk_mul_f32 v[32:33], v[32:33], v[32:33]
	s_delay_alu instid0(VALU_DEP_1) | instskip(NEXT) | instid1(VALU_DEP_1)
	v_fma_f32 v1, v1, v1, v32
	v_add_f32_e32 v1, v1, v33
	s_delay_alu instid0(VALU_DEP_1) | instskip(SKIP_1) | instid1(VALU_DEP_1)
	v_cmp_gt_f32_e32 vcc_lo, 0xf800000, v1
	v_mul_f32_e32 v31, 0x4f800000, v1
	v_cndmask_b32_e32 v1, v1, v31, vcc_lo
	s_delay_alu instid0(VALU_DEP_1) | instskip(SKIP_1) | instid1(TRANS32_DEP_1)
	v_sqrt_f32_e32 v31, v1
	v_nop
	v_add_nc_u32_e32 v32, -1, v31
	s_delay_alu instid0(VALU_DEP_1) | instskip(NEXT) | instid1(VALU_DEP_1)
	v_fma_f32 v33, -v32, v31, v1
	v_cmp_ge_f32_e64 s0, 0, v33
	s_delay_alu instid0(VALU_DEP_1) | instskip(NEXT) | instid1(VALU_DEP_1)
	v_dual_add_nc_u32 v33, 1, v31 :: v_dual_cndmask_b32 v32, v31, v32, s0
	v_fma_f32 v31, -v33, v31, v1
	s_delay_alu instid0(VALU_DEP_1) | instskip(NEXT) | instid1(VALU_DEP_1)
	v_cmp_lt_f32_e64 s0, 0, v31
	v_cndmask_b32_e64 v31, v32, v33, s0
	s_delay_alu instid0(VALU_DEP_1) | instskip(NEXT) | instid1(VALU_DEP_1)
	v_mul_f32_e32 v32, 0x37800000, v31
	v_cndmask_b32_e32 v31, v31, v32, vcc_lo
	v_cmp_class_f32_e64 vcc_lo, v1, 0x260
	s_delay_alu instid0(VALU_DEP_2) | instskip(NEXT) | instid1(VALU_DEP_1)
	v_cndmask_b32_e32 v31, v31, v1, vcc_lo
	v_pk_add_f32 v[0:1], v[30:31], v[0:1] op_sel_hi:[1,0] neg_lo:[0,1] neg_hi:[0,1]
	v_pk_fma_f32 v[30:31], v[96:97], v[30:31], 1.0 op_sel_hi:[0,1,0] neg_lo:[1,0,0] neg_hi:[1,0,0]
	s_delay_alu instid0(VALU_DEP_2) | instskip(NEXT) | instid1(VALU_DEP_3)
	v_cmp_gt_f32_e32 vcc_lo, 0, v0
	v_cmp_gt_f32_e64 s0, 0, v1
	v_cmp_gt_f32_e64 s1, s34, v0
	;; [unrolled: 1-line block ×3, first 2 shown]
	v_cndmask_b32_e64 v32, 0, 0x42980000, vcc_lo
	s_delay_alu instid0(VALU_DEP_4) | instskip(NEXT) | instid1(VALU_DEP_1)
	v_cndmask_b32_e64 v33, 0, 0x42980000, s0
	v_pk_fma_f32 v[8:9], v[30:31], v[32:33], v[8:9]
	v_pk_fma_f32 v[30:31], s[18:19], v[0:1], 1.0 op_sel_hi:[0,1,0] neg_lo:[1,0,0] neg_hi:[1,0,0]
	v_cndmask_b32_e64 v33, 0, 1.0, s3
	v_cndmask_b32_e64 v32, 0, 1.0, s1
	v_cmp_gt_f32_e64 s1, s31, v1
	v_cmp_gt_f32_e64 s3, s31, v0
	v_cndmask_b32_e64 v31, v31, 1.0, s0
	v_cndmask_b32_e64 v30, v30, 1.0, vcc_lo
	s_and_b32 s1, s30, s1
	s_and_b32 s3, s30, s3
	s_cmp_lg_u32 s25, 0
	s_delay_alu instid0(VALU_DEP_1) | instskip(NEXT) | instid1(VALU_DEP_1)
	v_pk_mul_f32 v[30:31], v[32:33], v[30:31]
	v_pk_mul_f32 v[30:31], v[24:25], v[30:31] op_sel_hi:[0,1]
	s_delay_alu instid0(VALU_DEP_1) | instskip(NEXT) | instid1(VALU_DEP_2)
	v_cndmask_b32_e64 v31, v31, -|v31|, s33
	v_cndmask_b32_e64 v30, v30, -|v30|, s33
	s_delay_alu instid0(VALU_DEP_1) | instskip(SKIP_3) | instid1(VALU_DEP_3)
	v_pk_fma_f32 v[8:9], v[30:31], s[12:13], v[8:9] op_sel_hi:[1,0,1]
	v_pk_fma_f32 v[30:31], v[22:23], v[0:1], 1.0 op_sel_hi:[0,1,0] neg_lo:[1,0,0] neg_hi:[1,0,0]
	v_cndmask_b32_e64 v1, 0, 1.0, s1
	v_cndmask_b32_e64 v0, 0, 1.0, s3
	;; [unrolled: 1-line block ×3, first 2 shown]
	s_delay_alu instid0(VALU_DEP_4) | instskip(NEXT) | instid1(VALU_DEP_3)
	v_cndmask_b32_e64 v30, v30, 1.0, vcc_lo
	v_pk_mul_f32 v[0:1], s[16:17], v[0:1] op_sel_hi:[0,1]
	s_delay_alu instid0(VALU_DEP_1)
	v_pk_fma_f32 v[8:9], v[30:31], v[0:1], v[8:9]
	s_cbranch_scc1 .LBB3_28
; %bb.29:                               ;   in Loop: Header=BB3_27 Depth=1
	s_add_co_i32 s13, s13, 1
	s_delay_alu instid0(SALU_CYCLE_1)
	s_cmp_lg_u32 s13, s19
	s_cbranch_scc1 .LBB3_27
; %bb.30:
	s_clause 0x1
	scratch_store_b128 off, v[14:17], off
	scratch_store_b128 off, v[6:9], off offset:16
	s_wait_xcnt 0x0
	s_and_saveexec_b32 s0, s2
	s_cbranch_execz .LBB3_32
; %bb.31:
	v_dual_add_nc_u32 v0, s26, v99 :: v_dual_mul_f32 v4, 0.5, v14
	s_delay_alu instid0(VALU_DEP_1) | instskip(NEXT) | instid1(VALU_DEP_1)
	v_dual_mul_f32 v5, 0.5, v15 :: v_dual_add_nc_u32 v1, s26, v0
	v_add_nc_u32_e32 v2, s26, v1
	s_delay_alu instid0(VALU_DEP_1) | instskip(NEXT) | instid1(VALU_DEP_1)
	v_dual_mul_f32 v10, 0.5, v16 :: v_dual_add_nc_u32 v3, s26, v2
	v_add_nc_u32_e32 v11, s26, v3
	s_clause 0x2
	global_store_b32 v99, v4, s[4:5] scale_offset
	global_store_b32 v0, v5, s[4:5] scale_offset
	;; [unrolled: 1-line block ×3, first 2 shown]
	s_wait_xcnt 0x1
	v_dual_mul_f32 v0, 0.5, v17 :: v_dual_mul_f32 v4, 0.5, v6
	v_mul_f32_e32 v5, 0.5, v7
	s_wait_xcnt 0x0
	v_dual_mul_f32 v6, 0.5, v8 :: v_dual_add_nc_u32 v1, s26, v11
	v_mul_f32_e32 v7, 0.5, v9
	s_delay_alu instid0(VALU_DEP_2)
	v_add_nc_u32_e32 v8, s26, v1
	s_clause 0x4
	global_store_b32 v2, v0, s[4:5] scale_offset
	global_store_b32 v3, v4, s[4:5] scale_offset
	;; [unrolled: 1-line block ×5, first 2 shown]
.LBB3_32:
	s_sendmsg sendmsg(MSG_DEALLOC_VGPRS)
	s_endpgm
	.section	.rodata,"a",@progbits
	.p2align	6, 0x0
	.amdhsa_kernel _ZL11fasten_mainILm8EEviiPK4AtomS2_PKfS4_S4_S4_S4_S4_PfPK8FFParamsi
		.amdhsa_group_segment_fixed_size 0
		.amdhsa_private_segment_fixed_size 496
		.amdhsa_kernarg_size 352
		.amdhsa_user_sgpr_count 2
		.amdhsa_user_sgpr_dispatch_ptr 0
		.amdhsa_user_sgpr_queue_ptr 0
		.amdhsa_user_sgpr_kernarg_segment_ptr 1
		.amdhsa_user_sgpr_dispatch_id 0
		.amdhsa_user_sgpr_kernarg_preload_length 0
		.amdhsa_user_sgpr_kernarg_preload_offset 0
		.amdhsa_user_sgpr_private_segment_size 0
		.amdhsa_wavefront_size32 1
		.amdhsa_uses_dynamic_stack 0
		.amdhsa_enable_private_segment 1
		.amdhsa_system_sgpr_workgroup_id_x 1
		.amdhsa_system_sgpr_workgroup_id_y 0
		.amdhsa_system_sgpr_workgroup_id_z 0
		.amdhsa_system_sgpr_workgroup_info 0
		.amdhsa_system_vgpr_workitem_id 0
		.amdhsa_next_free_vgpr 128
		.amdhsa_next_free_sgpr 35
		.amdhsa_named_barrier_count 0
		.amdhsa_reserve_vcc 1
		.amdhsa_float_round_mode_32 0
		.amdhsa_float_round_mode_16_64 0
		.amdhsa_float_denorm_mode_32 3
		.amdhsa_float_denorm_mode_16_64 3
		.amdhsa_fp16_overflow 0
		.amdhsa_memory_ordered 1
		.amdhsa_forward_progress 1
		.amdhsa_inst_pref_size 82
		.amdhsa_round_robin_scheduling 0
		.amdhsa_exception_fp_ieee_invalid_op 0
		.amdhsa_exception_fp_denorm_src 0
		.amdhsa_exception_fp_ieee_div_zero 0
		.amdhsa_exception_fp_ieee_overflow 0
		.amdhsa_exception_fp_ieee_underflow 0
		.amdhsa_exception_fp_ieee_inexact 0
		.amdhsa_exception_int_div_zero 0
	.end_amdhsa_kernel
	.section	.text._ZL11fasten_mainILm8EEviiPK4AtomS2_PKfS4_S4_S4_S4_S4_PfPK8FFParamsi,"axG",@progbits,_ZL11fasten_mainILm8EEviiPK4AtomS2_PKfS4_S4_S4_S4_S4_PfPK8FFParamsi,comdat
.Lfunc_end3:
	.size	_ZL11fasten_mainILm8EEviiPK4AtomS2_PKfS4_S4_S4_S4_S4_PfPK8FFParamsi, .Lfunc_end3-_ZL11fasten_mainILm8EEviiPK4AtomS2_PKfS4_S4_S4_S4_S4_PfPK8FFParamsi
                                        ; -- End function
	.set _ZL11fasten_mainILm8EEviiPK4AtomS2_PKfS4_S4_S4_S4_S4_PfPK8FFParamsi.num_vgpr, 128
	.set _ZL11fasten_mainILm8EEviiPK4AtomS2_PKfS4_S4_S4_S4_S4_PfPK8FFParamsi.num_agpr, 0
	.set _ZL11fasten_mainILm8EEviiPK4AtomS2_PKfS4_S4_S4_S4_S4_PfPK8FFParamsi.numbered_sgpr, 35
	.set _ZL11fasten_mainILm8EEviiPK4AtomS2_PKfS4_S4_S4_S4_S4_PfPK8FFParamsi.num_named_barrier, 0
	.set _ZL11fasten_mainILm8EEviiPK4AtomS2_PKfS4_S4_S4_S4_S4_PfPK8FFParamsi.private_seg_size, 496
	.set _ZL11fasten_mainILm8EEviiPK4AtomS2_PKfS4_S4_S4_S4_S4_PfPK8FFParamsi.uses_vcc, 1
	.set _ZL11fasten_mainILm8EEviiPK4AtomS2_PKfS4_S4_S4_S4_S4_PfPK8FFParamsi.uses_flat_scratch, 1
	.set _ZL11fasten_mainILm8EEviiPK4AtomS2_PKfS4_S4_S4_S4_S4_PfPK8FFParamsi.has_dyn_sized_stack, 0
	.set _ZL11fasten_mainILm8EEviiPK4AtomS2_PKfS4_S4_S4_S4_S4_PfPK8FFParamsi.has_recursion, 0
	.set _ZL11fasten_mainILm8EEviiPK4AtomS2_PKfS4_S4_S4_S4_S4_PfPK8FFParamsi.has_indirect_call, 0
	.section	.AMDGPU.csdata,"",@progbits
; Kernel info:
; codeLenInByte = 10468
; TotalNumSgprs: 37
; NumVgprs: 128
; ScratchSize: 496
; MemoryBound: 0
; FloatMode: 240
; IeeeMode: 1
; LDSByteSize: 0 bytes/workgroup (compile time only)
; SGPRBlocks: 0
; VGPRBlocks: 7
; NumSGPRsForWavesPerEU: 37
; NumVGPRsForWavesPerEU: 128
; NamedBarCnt: 0
; Occupancy: 8
; WaveLimiterHint : 1
; COMPUTE_PGM_RSRC2:SCRATCH_EN: 1
; COMPUTE_PGM_RSRC2:USER_SGPR: 2
; COMPUTE_PGM_RSRC2:TRAP_HANDLER: 0
; COMPUTE_PGM_RSRC2:TGID_X_EN: 1
; COMPUTE_PGM_RSRC2:TGID_Y_EN: 0
; COMPUTE_PGM_RSRC2:TGID_Z_EN: 0
; COMPUTE_PGM_RSRC2:TIDIG_COMP_CNT: 0
	.section	.text._ZL11fasten_mainILm16EEviiPK4AtomS2_PKfS4_S4_S4_S4_S4_PfPK8FFParamsi,"axG",@progbits,_ZL11fasten_mainILm16EEviiPK4AtomS2_PKfS4_S4_S4_S4_S4_PfPK8FFParamsi,comdat
	.globl	_ZL11fasten_mainILm16EEviiPK4AtomS2_PKfS4_S4_S4_S4_S4_PfPK8FFParamsi ; -- Begin function _ZL11fasten_mainILm16EEviiPK4AtomS2_PKfS4_S4_S4_S4_S4_PfPK8FFParamsi
	.p2align	8
	.type	_ZL11fasten_mainILm16EEviiPK4AtomS2_PKfS4_S4_S4_S4_S4_PfPK8FFParamsi,@function
_ZL11fasten_mainILm16EEviiPK4AtomS2_PKfS4_S4_S4_S4_S4_PfPK8FFParamsi: ; @_ZL11fasten_mainILm16EEviiPK4AtomS2_PKfS4_S4_S4_S4_S4_PfPK8FFParamsi
; %bb.0:
	s_clause 0x1
	s_load_b32 s2, s[0:1], 0x6c
	s_load_b32 s3, s[0:1], 0x58
	s_bfe_u32 s4, ttmp6, 0x4000c
	s_and_b32 s5, ttmp6, 15
	s_add_co_i32 s4, s4, 1
	s_getreg_b32 s6, hwreg(HW_REG_IB_STS2, 6, 4)
	s_mul_i32 s4, ttmp9, s4
	s_load_b512 s[8:23], s[0:1], 0x8
	s_add_co_i32 s5, s5, s4
	s_mov_b32 s7, 0
	s_mov_b64 s[24:25], 0xfe5163ab
	s_mov_b32 s27, 0x7fffff
	s_mov_b32 s28, 0xb94c1982
	;; [unrolled: 1-line block ×4, first 2 shown]
	v_mov_b32_e32 v15, 0
	s_wait_kmcnt 0x0
	s_and_b32 s26, s2, 0xffff
	s_cmp_eq_u32 s6, 0
	s_cselect_b32 s2, ttmp9, s5
	s_add_co_i32 s4, s3, -16
	s_mul_i32 s2, s2, s26
	s_mov_b32 s5, 0
	v_lshl_add_u32 v0, s2, 4, v0
	s_lshl_b32 s6, s26, 2
	s_delay_alu instid0(VALU_DEP_1) | instskip(SKIP_3) | instid1(VALU_DEP_1)
	v_cmp_gt_i32_e64 s2, s3, v0
	scratch_store_b32 off, v0, off offset:1712 ; 4-byte Folded Spill
	s_wait_xcnt 0x0
	v_cndmask_b32_e64 v0, s4, v0, s2
	v_ashrrev_i32_e32 v1, 31, v0
	s_delay_alu instid0(VALU_DEP_1)
	v_lshlrev_b64_e32 v[12:13], 2, v[0:1]
	s_branch .LBB4_2
.LBB4_1:                                ;   in Loop: Header=BB4_2 Depth=1
	s_or_b32 exec_lo, exec_lo, s3
	v_add_nc_u64_e32 v[26:27], s[18:19], v[12:13]
	v_add_nc_u64_e32 v[28:29], s[20:21], v[12:13]
	;; [unrolled: 1-line block ×3, first 2 shown]
	v_dual_mul_f32 v32, v2, v2 :: v_dual_bitop2_b32 v33, 1, v4 bitop3:0x40
	v_dual_lshlrev_b32 v4, 30, v4 :: v_dual_mul_f32 v34, v23, v23
	global_load_b32 v11, v[26:27], off
	global_load_b32 v7, v[28:29], off
	;; [unrolled: 1-line block ×3, first 2 shown]
	v_dual_mul_f32 v14, v21, v21 :: v_dual_bitop2_b32 v25, 1, v22 bitop3:0x40
	s_wait_xcnt 0x0
	v_dual_mul_f32 v30, v5, v5 :: v_dual_bitop2_b32 v31, 1, v8 bitop3:0x40
	v_fmaak_f32 v46, s28, v34, 0x3c0881c4
	s_delay_alu instid0(VALU_DEP_3) | instskip(SKIP_1) | instid1(VALU_DEP_4)
	v_fmaak_f32 v36, s28, v14, 0x3c0881c4
	v_dual_lshlrev_b32 v22, 30, v22 :: v_dual_mul_f32 v26, v17, v17
	v_fmaak_f32 v42, s28, v30, 0x3c0881c4
	s_delay_alu instid0(VALU_DEP_4) | instskip(SKIP_2) | instid1(VALU_DEP_4)
	v_fmaak_f32 v46, v34, v46, 0xbe2aaa9d
	v_fmaak_f32 v45, s29, v32, 0xbab64f3b
	v_dual_mul_f32 v28, v10, v10 :: v_dual_bitop2_b32 v27, 1, v19 bitop3:0x40
	v_fmaak_f32 v42, v30, v42, 0xbe2aaa9d
	s_delay_alu instid0(VALU_DEP_4) | instskip(SKIP_2) | instid1(VALU_DEP_4)
	v_mul_f32_e32 v46, v34, v46
	v_fmaak_f32 v36, v14, v36, 0xbe2aaa9d
	v_fmaak_f32 v45, v32, v45, 0x3d2aabf7
	v_dual_fmaak_f32 v41, s29, v28, 0xbab64f3b :: v_dual_mul_f32 v42, v30, v42
	s_delay_alu instid0(VALU_DEP_4) | instskip(NEXT) | instid1(VALU_DEP_4)
	v_fmac_f32_e32 v23, v23, v46
	v_dual_fmaak_f32 v37, s29, v14, 0xbab64f3b :: v_dual_mul_f32 v36, v14, v36
	v_fmaak_f32 v38, s28, v26, 0x3c0881c4
	s_delay_alu instid0(VALU_DEP_4) | instskip(SKIP_1) | instid1(VALU_DEP_3)
	v_dual_fmaak_f32 v44, s28, v32, 0x3c0881c4 :: v_dual_fmac_f32 v5, v5, v42
	v_fmaak_f32 v45, v32, v45, 0xbf000004
	v_dual_fmac_f32 v21, v21, v36 :: v_dual_fmaak_f32 v38, v26, v38, 0xbe2aaa9d
	v_xor_b32_e32 v1, v1, v0
	s_delay_alu instid0(VALU_DEP_4)
	v_fmaak_f32 v44, v32, v44, 0xbe2aaa9d
	v_fmaak_f32 v43, s29, v30, 0xbab64f3b
	v_cmp_eq_u32_e32 vcc_lo, 0, v25
	v_mul_f32_e32 v38, v26, v38
	v_fmaak_f32 v40, s28, v28, 0x3c0881c4
	v_mul_f32_e32 v44, v32, v44
	v_fmaak_f32 v41, v28, v41, 0x3d2aabf7
	v_fma_f32 v32, v32, v45, 1.0
	s_delay_alu instid0(VALU_DEP_4) | instskip(NEXT) | instid1(VALU_DEP_4)
	v_dual_fmac_f32 v17, v17, v38 :: v_dual_fmaak_f32 v40, v28, v40, 0xbe2aaa9d
	v_dual_fmaak_f32 v39, s29, v26, 0xbab64f3b :: v_dual_fmac_f32 v2, v2, v44
	s_delay_alu instid0(VALU_DEP_4) | instskip(SKIP_1) | instid1(VALU_DEP_4)
	v_fmaak_f32 v41, v28, v41, 0xbf000004
	v_dual_lshlrev_b32 v16, 30, v16 :: v_dual_bitop2_b32 v29, 1, v16 bitop3:0x40
	v_dual_mul_f32 v40, v28, v40 :: v_dual_fmaak_f32 v47, s29, v34, 0xbab64f3b
	s_delay_alu instid0(VALU_DEP_3) | instskip(SKIP_2) | instid1(VALU_DEP_4)
	v_fma_f32 v28, v28, v41, 1.0
	v_fmaak_f32 v39, v26, v39, 0x3d2aabf7
	v_fmaak_f32 v43, v30, v43, 0x3d2aabf7
	v_fmac_f32_e32 v10, v10, v40
	v_fmaak_f32 v37, v14, v37, 0x3d2aabf7
	v_fmaak_f32 v47, v34, v47, 0x3d2aabf7
	;; [unrolled: 1-line block ×4, first 2 shown]
	v_dual_lshlrev_b32 v24, 30, v24 :: v_dual_bitop2_b32 v35, 1, v24 bitop3:0x40
	v_fmaak_f32 v37, v14, v37, 0xbf000004
	s_delay_alu instid0(VALU_DEP_4) | instskip(NEXT) | instid1(VALU_DEP_4)
	v_fma_f32 v26, v26, v39, 1.0
	v_fma_f32 v30, v30, v43, 1.0
	v_fmaak_f32 v47, v34, v47, 0xbf000004
	v_dual_lshlrev_b32 v19, 30, v19 :: v_dual_bitop2_b32 v20, v20, v18 bitop3:0x14
	v_fma_f32 v14, v14, v37, 1.0
	v_dual_lshlrev_b32 v8, 30, v8 :: v_dual_bitop2_b32 v9, v9, v6 bitop3:0x14
	s_delay_alu instid0(VALU_DEP_4) | instskip(SKIP_1) | instid1(VALU_DEP_4)
	v_fma_f32 v34, v34, v47, 1.0
	v_and_b32_e32 v4, 0x80000000, v4
	v_cndmask_b32_e32 v14, v14, v21, vcc_lo
	v_cmp_eq_u32_e32 vcc_lo, 0, v27
	v_and_b32_e32 v22, 0x80000000, v22
	v_and_b32_e32 v16, 0x80000000, v16
	v_cmp_class_f32_e64 s3, v0, 0x1f8
	v_cmp_class_f32_e64 s4, v6, 0x1f8
	v_cndmask_b32_e64 v17, -v17, v26, vcc_lo
	v_cmp_eq_u32_e32 vcc_lo, 0, v29
	v_xor3_b32 v14, v20, v22, v14
	v_add_nc_u64_e32 v[12:13], s[6:7], v[12:13]
	s_add_co_i32 s31, s30, 64
	v_bitop3_b32 v17, v19, v17, 0x80000000 bitop3:0x6c
	v_cndmask_b32_e32 v10, v28, v10, vcc_lo
	v_cmp_eq_u32_e32 vcc_lo, 0, v31
	s_add_co_i32 s30, s30, 48
	scratch_store_b32 off, v15, s5
	v_cndmask_b32_e64 v6, 0x7fc00000, v17, s4
	v_xor3_b32 v9, v9, v16, v10
	v_cndmask_b32_e64 v5, -v5, v30, vcc_lo
	v_cmp_eq_u32_e32 vcc_lo, 0, v33
	s_wait_xcnt 0x0
	s_add_co_i32 s5, s5, 4
	s_cmp_lg_u32 s30, 0x300
	v_bitop3_b32 v5, v8, v5, 0x80000000 bitop3:0x6c
	v_cndmask_b32_e32 v2, v32, v2, vcc_lo
	v_cmp_eq_u32_e32 vcc_lo, 0, v35
	s_delay_alu instid0(VALU_DEP_3) | instskip(NEXT) | instid1(VALU_DEP_3)
	v_cndmask_b32_e64 v17, 0x7fc00000, v5, s3
	v_xor3_b32 v1, v1, v4, v2
	v_cndmask_b32_e64 v21, -v23, v34, vcc_lo
	v_cmp_class_f32_e64 vcc_lo, v18, 0x1f8
	s_delay_alu instid0(VALU_DEP_4) | instskip(NEXT) | instid1(VALU_DEP_4)
	v_mov_b32_e32 v18, v17
	v_cndmask_b32_e64 v16, 0x7fc00000, v1, s3
	s_delay_alu instid0(VALU_DEP_4) | instskip(NEXT) | instid1(VALU_DEP_2)
	v_bitop3_b32 v0, v24, v21, 0x80000000 bitop3:0x6c
	v_dual_cndmask_b32 v2, 0x7fc00000, v14 :: v_dual_mov_b32 v19, v16
	s_delay_alu instid0(VALU_DEP_2) | instskip(SKIP_1) | instid1(VALU_DEP_3)
	v_cndmask_b32_e32 v10, 0x7fc00000, v0, vcc_lo
	v_cndmask_b32_e64 v0, 0x7fc00000, v9, s4
	v_mul_f32_e32 v4, v6, v2
	s_delay_alu instid0(VALU_DEP_3) | instskip(NEXT) | instid1(VALU_DEP_3)
	v_mul_f32_e32 v8, v6, v10
	v_pk_mul_f32 v[20:21], v[16:17], v[0:1] op_sel_hi:[1,0]
	v_xor_b32_e32 v0, 0x80000000, v0
	s_wait_loadcnt 0x2
	v_pk_mul_f32 v[18:19], v[18:19], v[10:11] op_sel_hi:[1,0]
	s_delay_alu instid0(VALU_DEP_3) | instskip(SKIP_4) | instid1(VALU_DEP_3)
	v_pk_mul_f32 v[24:25], v[20:21], v[10:11] op_sel_hi:[1,0]
	s_wait_loadcnt 0x0
	v_pk_mul_f32 v[22:23], v[16:17], v[2:3] op_sel_hi:[1,0]
	v_pk_mul_f32 v[28:29], v[20:21], v[2:3] op_sel_hi:[1,0]
	v_pk_mul_f32 v[16:17], v[16:17], v[6:7] op_sel_hi:[1,0]
	v_pk_fma_f32 v[26:27], v[20:21], v[10:11], v[22:23] op_sel:[0,0,1] op_sel_hi:[1,0,0]
	v_pk_fma_f32 v[20:21], v[20:21], v[2:3], v[18:19] op_sel_hi:[1,0,1] neg_lo:[0,0,1] neg_hi:[0,0,1]
	v_sub_f32_e32 v9, v24, v23
	v_add_f32_e32 v5, v28, v18
	s_delay_alu instid0(VALU_DEP_4) | instskip(NEXT) | instid1(VALU_DEP_4)
	v_dual_mov_b32 v1, v16 :: v_dual_mov_b32 v10, v27
	v_dual_mov_b32 v6, v21 :: v_dual_mov_b32 v2, v17
	s_clause 0x2
	scratch_store_b128 off, v[8:11], s31
	scratch_store_b128 off, v[4:7], s31 offset:16
	scratch_store_b128 off, v[0:3], s31 offset:32
	s_cbranch_scc0 .LBB4_26
.LBB4_2:                                ; =>This Inner Loop Header: Depth=1
	s_wait_xcnt 0x0
	s_delay_alu instid0(VALU_DEP_1)
	v_add_nc_u64_e32 v[0:1], s[12:13], v[12:13]
                                        ; implicit-def: $vgpr4
	global_load_b32 v0, v[0:1], off
	s_wait_loadcnt 0x0
	s_wait_xcnt 0x0
	v_and_b32_e32 v1, 0x7fffffff, v0
	v_cmp_ngt_f32_e64 s31, 0x48000000, |v0|
	s_delay_alu instid0(VALU_DEP_2) | instskip(SKIP_1) | instid1(VALU_DEP_2)
	v_lshrrev_b32_e32 v2, 23, v1
	v_and_or_b32 v14, v1, s27, 0x800000
	v_add_nc_u32_e32 v3, 0xffffff88, v2
                                        ; implicit-def: $vgpr2
	s_and_saveexec_b32 s3, s31
	s_delay_alu instid0(SALU_CYCLE_1)
	s_xor_b32 s33, exec_lo, s3
	s_cbranch_execz .LBB4_4
; %bb.3:                                ;   in Loop: Header=BB4_2 Depth=1
	v_mul_u64_e32 v[4:5], s[24:25], v[14:15]
	v_mov_b32_e32 v7, v15
	v_cmp_lt_u32_e32 vcc_lo, 63, v3
	v_mov_b32_e32 v21, v15
	v_cndmask_b32_e64 v2, 0, 0xffffffc0, vcc_lo
	s_delay_alu instid0(VALU_DEP_1) | instskip(NEXT) | instid1(VALU_DEP_1)
	v_add_nc_u32_e32 v2, v2, v3
	v_cmp_lt_u32_e64 s3, 31, v2
	v_mov_b32_e32 v6, v5
	s_delay_alu instid0(VALU_DEP_2) | instskip(NEXT) | instid1(VALU_DEP_2)
	v_cndmask_b32_e64 v5, 0, 0xffffffe0, s3
	v_mad_nc_u64_u32 v[6:7], 0x3c439041, v14, v[6:7]
	s_delay_alu instid0(VALU_DEP_2) | instskip(NEXT) | instid1(VALU_DEP_1)
	v_dual_mov_b32 v9, v15 :: v_dual_add_nc_u32 v2, v5, v2
	v_cmp_lt_u32_e64 s4, 31, v2
	s_delay_alu instid0(VALU_DEP_3) | instskip(NEXT) | instid1(VALU_DEP_2)
	v_mov_b32_e32 v8, v7
	v_cndmask_b32_e64 v5, 0, 0xffffffe0, s4
	s_delay_alu instid0(VALU_DEP_2) | instskip(NEXT) | instid1(VALU_DEP_1)
	v_mad_nc_u64_u32 v[8:9], 0xdb629599, v14, v[8:9]
	v_dual_mov_b32 v11, v15 :: v_dual_mov_b32 v10, v9
	s_delay_alu instid0(VALU_DEP_2) | instskip(NEXT) | instid1(VALU_DEP_2)
	v_cndmask_b32_e32 v4, v8, v4, vcc_lo
	v_mad_nc_u64_u32 v[10:11], 0xf534ddc0, v14, v[10:11]
	s_delay_alu instid0(VALU_DEP_1) | instskip(NEXT) | instid1(VALU_DEP_1)
	v_dual_mov_b32 v17, v15 :: v_dual_mov_b32 v16, v11
	v_mad_nc_u64_u32 v[16:17], 0xfc2757d1, v14, v[16:17]
	s_delay_alu instid0(VALU_DEP_1) | instskip(NEXT) | instid1(VALU_DEP_1)
	v_dual_mov_b32 v19, v15 :: v_dual_mov_b32 v18, v17
	v_mad_nc_u64_u32 v[18:19], 0x4e441529, v14, v[18:19]
	s_delay_alu instid0(VALU_DEP_1) | instskip(NEXT) | instid1(VALU_DEP_1)
	v_mov_b32_e32 v20, v19
	v_mad_nc_u64_u32 v[20:21], 0xa2f9836e, v14, v[20:21]
	s_delay_alu instid0(VALU_DEP_1) | instskip(NEXT) | instid1(VALU_DEP_2)
	v_dual_cndmask_b32 v7, v18, v10, vcc_lo :: v_dual_cndmask_b32 v9, v20, v16, vcc_lo
	v_dual_cndmask_b32 v11, v21, v18 :: v_dual_cndmask_b32 v16, v16, v8
	v_add_nc_u32_e32 v2, v5, v2
	s_delay_alu instid0(VALU_DEP_3) | instskip(NEXT) | instid1(VALU_DEP_3)
	v_dual_cndmask_b32 v5, v10, v6, vcc_lo :: v_dual_cndmask_b32 v6, v9, v7, s3
	v_cndmask_b32_e64 v9, v11, v9, s3
	s_delay_alu instid0(VALU_DEP_3) | instskip(NEXT) | instid1(VALU_DEP_3)
	v_dual_cndmask_b32 v7, v7, v16, s3 :: v_dual_sub_nc_u32 v10, 32, v2
	v_cndmask_b32_e64 v11, v16, v5, s3
	v_cmp_eq_u32_e32 vcc_lo, 0, v2
	s_delay_alu instid0(VALU_DEP_3) | instskip(NEXT) | instid1(VALU_DEP_1)
	v_dual_cndmask_b32 v9, v9, v6, s4 :: v_dual_cndmask_b32 v6, v6, v7, s4
	v_alignbit_b32 v16, v9, v6, v10
	s_delay_alu instid0(VALU_DEP_1) | instskip(NEXT) | instid1(VALU_DEP_1)
	v_dual_cndmask_b32 v7, v7, v11, s4 :: v_dual_cndmask_b32 v2, v16, v9, vcc_lo
	v_alignbit_b32 v8, v6, v7, v10
	s_delay_alu instid0(VALU_DEP_1) | instskip(NEXT) | instid1(VALU_DEP_3)
	v_dual_cndmask_b32 v4, v5, v4, s3 :: v_dual_cndmask_b32 v5, v8, v6, vcc_lo
	v_bfe_u32 v6, v2, 29, 1
	s_delay_alu instid0(VALU_DEP_2) | instskip(NEXT) | instid1(VALU_DEP_3)
	v_cndmask_b32_e64 v4, v11, v4, s4
	v_alignbit_b32 v8, v2, v5, 30
	s_delay_alu instid0(VALU_DEP_3) | instskip(NEXT) | instid1(VALU_DEP_3)
	v_sub_nc_u32_e32 v9, 0, v6
	v_alignbit_b32 v10, v7, v4, v10
	s_delay_alu instid0(VALU_DEP_1) | instskip(NEXT) | instid1(VALU_DEP_1)
	v_dual_cndmask_b32 v7, v10, v7, vcc_lo :: v_dual_bitop2_b32 v8, v8, v9 bitop3:0x14
	v_clz_i32_u32_e32 v10, v8
	s_delay_alu instid0(VALU_DEP_2) | instskip(SKIP_1) | instid1(VALU_DEP_3)
	v_alignbit_b32 v5, v5, v7, 30
	v_alignbit_b32 v4, v7, v4, 30
	v_min_u32_e32 v10, 32, v10
	s_delay_alu instid0(VALU_DEP_3) | instskip(NEXT) | instid1(VALU_DEP_3)
	v_xor_b32_e32 v5, v5, v9
	v_dual_lshrrev_b32 v9, 29, v2 :: v_dual_bitop2_b32 v4, v4, v9 bitop3:0x14
	s_delay_alu instid0(VALU_DEP_3) | instskip(NEXT) | instid1(VALU_DEP_1)
	v_dual_sub_nc_u32 v7, 31, v10 :: v_dual_lshlrev_b32 v11, 23, v10
	v_alignbit_b32 v8, v8, v5, v7
	s_delay_alu instid0(VALU_DEP_3) | instskip(NEXT) | instid1(VALU_DEP_4)
	v_alignbit_b32 v4, v5, v4, v7
	v_lshlrev_b32_e32 v5, 31, v9
	s_delay_alu instid0(VALU_DEP_2) | instskip(NEXT) | instid1(VALU_DEP_2)
	v_alignbit_b32 v7, v8, v4, 9
	v_dual_lshrrev_b32 v8, 9, v8 :: v_dual_bitop2_b32 v9, 0.5, v5 bitop3:0x54
	v_or_b32_e32 v5, 0x33000000, v5
	s_delay_alu instid0(VALU_DEP_3) | instskip(NEXT) | instid1(VALU_DEP_3)
	v_clz_i32_u32_e32 v16, v7
	v_sub_nc_u32_e32 v9, v9, v11
	s_delay_alu instid0(VALU_DEP_2) | instskip(NEXT) | instid1(VALU_DEP_1)
	v_min_u32_e32 v11, 32, v16
	v_add_lshl_u32 v10, v11, v10, 23
	s_delay_alu instid0(VALU_DEP_3) | instskip(SKIP_1) | instid1(VALU_DEP_2)
	v_or_b32_e32 v8, v8, v9
	v_not_b32_e32 v9, v11
	v_dual_mul_f32 v16, 0x3fc90fda, v8 :: v_dual_sub_nc_u32 v5, v5, v10
	s_delay_alu instid0(VALU_DEP_2) | instskip(NEXT) | instid1(VALU_DEP_2)
	v_alignbit_b32 v4, v7, v4, v9
	v_fma_f32 v7, 0x3fc90fda, v8, -v16
	s_delay_alu instid0(VALU_DEP_2) | instskip(NEXT) | instid1(VALU_DEP_2)
	v_lshrrev_b32_e32 v4, 9, v4
	v_fmac_f32_e32 v7, 0x33a22168, v8
	s_delay_alu instid0(VALU_DEP_2) | instskip(NEXT) | instid1(VALU_DEP_1)
	v_or_b32_e32 v4, v5, v4
	v_dual_fmac_f32 v7, 0x3fc90fda, v4 :: v_dual_lshrrev_b32 v4, 30, v2
	s_delay_alu instid0(VALU_DEP_1)
	v_dual_add_nc_u32 v4, v6, v4 :: v_dual_add_f32 v2, v16, v7
.LBB4_4:                                ;   in Loop: Header=BB4_2 Depth=1
	s_or_saveexec_b32 s3, s33
	v_mul_f32_e64 v5, 0x3f22f983, |v0|
	s_delay_alu instid0(VALU_DEP_1)
	v_rndne_f32_e32 v6, v5
	s_xor_b32 exec_lo, exec_lo, s3
; %bb.5:                                ;   in Loop: Header=BB4_2 Depth=1
	s_delay_alu instid0(VALU_DEP_1) | instskip(SKIP_1) | instid1(VALU_DEP_2)
	v_fma_f32 v2, 0xbfc90fda, v6, |v0|
	v_cvt_i32_f32_e32 v4, v6
	v_fmac_f32_e32 v2, 0xb3a22168, v6
	s_delay_alu instid0(VALU_DEP_1)
	v_fmac_f32_e32 v2, 0xa7c234c4, v6
; %bb.6:                                ;   in Loop: Header=BB4_2 Depth=1
	s_or_b32 exec_lo, exec_lo, s3
                                        ; implicit-def: $vgpr8
                                        ; implicit-def: $vgpr5
	s_and_saveexec_b32 s3, s31
	s_delay_alu instid0(SALU_CYCLE_1)
	s_xor_b32 s31, exec_lo, s3
	s_cbranch_execz .LBB4_8
; %bb.7:                                ;   in Loop: Header=BB4_2 Depth=1
	v_mul_u64_e32 v[6:7], s[24:25], v[14:15]
	v_mov_b32_e32 v9, v15
	v_cmp_lt_u32_e32 vcc_lo, 63, v3
	v_mov_b32_e32 v23, v15
	v_cndmask_b32_e64 v5, 0, 0xffffffc0, vcc_lo
	s_delay_alu instid0(VALU_DEP_1) | instskip(NEXT) | instid1(VALU_DEP_1)
	v_add_nc_u32_e32 v3, v5, v3
	v_cmp_lt_u32_e64 s3, 31, v3
	s_delay_alu instid0(VALU_DEP_1) | instskip(SKIP_1) | instid1(VALU_DEP_1)
	v_cndmask_b32_e64 v5, 0, 0xffffffe0, s3
	v_mov_b32_e32 v8, v7
	v_mad_nc_u64_u32 v[8:9], 0x3c439041, v14, v[8:9]
	s_delay_alu instid0(VALU_DEP_1) | instskip(NEXT) | instid1(VALU_DEP_1)
	v_dual_mov_b32 v11, v15 :: v_dual_mov_b32 v10, v9
	v_mad_nc_u64_u32 v[10:11], 0xdb629599, v14, v[10:11]
	s_delay_alu instid0(VALU_DEP_1) | instskip(NEXT) | instid1(VALU_DEP_1)
	v_dual_mov_b32 v17, v15 :: v_dual_mov_b32 v16, v11
	;; [unrolled: 3-line block ×4, first 2 shown]
	v_mad_nc_u64_u32 v[20:21], 0x4e441529, v14, v[20:21]
	s_delay_alu instid0(VALU_DEP_1) | instskip(NEXT) | instid1(VALU_DEP_1)
	v_dual_mov_b32 v22, v21 :: v_dual_cndmask_b32 v7, v20, v16
	v_mad_nc_u64_u32 v[22:23], 0xa2f9836e, v14, v[22:23]
	v_dual_cndmask_b32 v14, v18, v10 :: v_dual_add_nc_u32 v3, v5, v3
	s_delay_alu instid0(VALU_DEP_2) | instskip(NEXT) | instid1(VALU_DEP_2)
	v_dual_cndmask_b32 v11, v23, v20, vcc_lo :: v_dual_cndmask_b32 v9, v22, v18, vcc_lo
	v_cmp_lt_u32_e64 s4, 31, v3
	s_delay_alu instid0(VALU_DEP_1) | instskip(NEXT) | instid1(VALU_DEP_1)
	v_cndmask_b32_e64 v5, 0, 0xffffffe0, s4
	v_dual_add_nc_u32 v3, v5, v3 :: v_dual_cndmask_b32 v5, v16, v8, vcc_lo
	s_delay_alu instid0(VALU_DEP_4) | instskip(NEXT) | instid1(VALU_DEP_2)
	v_dual_cndmask_b32 v8, v9, v7, s3 :: v_dual_cndmask_b32 v9, v11, v9, s3
	v_dual_cndmask_b32 v7, v7, v14, s3 :: v_dual_sub_nc_u32 v11, 32, v3
	s_delay_alu instid0(VALU_DEP_2) | instskip(NEXT) | instid1(VALU_DEP_1)
	v_dual_cndmask_b32 v14, v14, v5, s3 :: v_dual_cndmask_b32 v9, v9, v8, s4
	v_dual_cndmask_b32 v8, v8, v7, s4 :: v_dual_cndmask_b32 v7, v7, v14, s4
	s_delay_alu instid0(VALU_DEP_1) | instskip(SKIP_2) | instid1(VALU_DEP_4)
	v_alignbit_b32 v16, v9, v8, v11
	v_cndmask_b32_e32 v6, v10, v6, vcc_lo
	v_cmp_eq_u32_e32 vcc_lo, 0, v3
	v_alignbit_b32 v10, v8, v7, v11
	s_delay_alu instid0(VALU_DEP_3) | instskip(NEXT) | instid1(VALU_DEP_2)
	v_dual_cndmask_b32 v3, v16, v9, vcc_lo :: v_dual_cndmask_b32 v5, v5, v6, s3
	v_cndmask_b32_e32 v6, v10, v8, vcc_lo
	s_delay_alu instid0(VALU_DEP_2) | instskip(NEXT) | instid1(VALU_DEP_3)
	v_bfe_u32 v8, v3, 29, 1
	v_cndmask_b32_e64 v5, v14, v5, s4
	s_delay_alu instid0(VALU_DEP_3) | instskip(NEXT) | instid1(VALU_DEP_3)
	v_alignbit_b32 v9, v3, v6, 30
	v_sub_nc_u32_e32 v10, 0, v8
	s_delay_alu instid0(VALU_DEP_3) | instskip(NEXT) | instid1(VALU_DEP_1)
	v_alignbit_b32 v11, v7, v5, v11
	v_dual_cndmask_b32 v7, v11, v7, vcc_lo :: v_dual_bitop2_b32 v9, v9, v10 bitop3:0x14
	s_delay_alu instid0(VALU_DEP_1) | instskip(NEXT) | instid1(VALU_DEP_2)
	v_clz_i32_u32_e32 v11, v9
	v_alignbit_b32 v6, v6, v7, 30
	v_alignbit_b32 v5, v7, v5, 30
	s_delay_alu instid0(VALU_DEP_3) | instskip(NEXT) | instid1(VALU_DEP_3)
	v_min_u32_e32 v11, 32, v11
	v_xor_b32_e32 v6, v6, v10
	s_delay_alu instid0(VALU_DEP_3) | instskip(SKIP_1) | instid1(VALU_DEP_4)
	v_dual_lshrrev_b32 v10, 29, v3 :: v_dual_bitop2_b32 v5, v5, v10 bitop3:0x14
	v_lshrrev_b32_e32 v3, 30, v3
	v_dual_sub_nc_u32 v7, 31, v11 :: v_dual_lshlrev_b32 v14, 23, v11
	s_delay_alu instid0(VALU_DEP_2) | instskip(NEXT) | instid1(VALU_DEP_2)
	v_add_nc_u32_e32 v8, v8, v3
	v_alignbit_b32 v9, v9, v6, v7
	v_alignbit_b32 v5, v6, v5, v7
	v_lshlrev_b32_e32 v6, 31, v10
	s_delay_alu instid0(VALU_DEP_2) | instskip(NEXT) | instid1(VALU_DEP_2)
	v_alignbit_b32 v7, v9, v5, 9
	v_dual_lshrrev_b32 v9, 9, v9 :: v_dual_bitop2_b32 v10, 0.5, v6 bitop3:0x54
	v_or_b32_e32 v6, 0x33000000, v6
	s_delay_alu instid0(VALU_DEP_3) | instskip(NEXT) | instid1(VALU_DEP_3)
	v_clz_i32_u32_e32 v16, v7
	v_sub_nc_u32_e32 v10, v10, v14
	s_delay_alu instid0(VALU_DEP_2) | instskip(NEXT) | instid1(VALU_DEP_1)
	v_min_u32_e32 v14, 32, v16
	v_add_lshl_u32 v11, v14, v11, 23
	s_delay_alu instid0(VALU_DEP_3) | instskip(SKIP_1) | instid1(VALU_DEP_3)
	v_or_b32_e32 v9, v9, v10
	v_not_b32_e32 v10, v14
	v_sub_nc_u32_e32 v6, v6, v11
	s_delay_alu instid0(VALU_DEP_3) | instskip(NEXT) | instid1(VALU_DEP_3)
	v_mul_f32_e32 v16, 0x3fc90fda, v9
	v_alignbit_b32 v5, v7, v5, v10
	s_delay_alu instid0(VALU_DEP_2) | instskip(NEXT) | instid1(VALU_DEP_2)
	v_fma_f32 v7, 0x3fc90fda, v9, -v16
	v_lshrrev_b32_e32 v5, 9, v5
	s_delay_alu instid0(VALU_DEP_2) | instskip(NEXT) | instid1(VALU_DEP_2)
	v_fmac_f32_e32 v7, 0x33a22168, v9
	v_or_b32_e32 v5, v6, v5
                                        ; implicit-def: $vgpr6
	s_delay_alu instid0(VALU_DEP_1) | instskip(NEXT) | instid1(VALU_DEP_1)
	v_fmac_f32_e32 v7, 0x3fc90fda, v5
	v_add_f32_e32 v5, v16, v7
	s_and_not1_saveexec_b32 s3, s31
	s_cbranch_execnz .LBB4_9
	s_branch .LBB4_10
.LBB4_8:                                ;   in Loop: Header=BB4_2 Depth=1
	s_and_not1_saveexec_b32 s3, s31
.LBB4_9:                                ;   in Loop: Header=BB4_2 Depth=1
	v_fma_f32 v5, 0xbfc90fda, v6, |v0|
	v_cvt_i32_f32_e32 v8, v6
	s_delay_alu instid0(VALU_DEP_2) | instskip(NEXT) | instid1(VALU_DEP_1)
	v_fmac_f32_e32 v5, 0xb3a22168, v6
	v_fmac_f32_e32 v5, 0xa7c234c4, v6
.LBB4_10:                               ;   in Loop: Header=BB4_2 Depth=1
	s_or_b32 exec_lo, exec_lo, s3
	v_add_nc_u64_e32 v[6:7], s[14:15], v[12:13]
                                        ; implicit-def: $vgpr16
                                        ; implicit-def: $vgpr10
	global_load_b32 v6, v[6:7], off
	s_wait_loadcnt 0x0
	v_and_b32_e32 v9, 0x7fffffff, v6
	v_cmp_ngt_f32_e64 s31, 0x48000000, |v6|
	s_delay_alu instid0(VALU_DEP_2) | instskip(SKIP_1) | instid1(VALU_DEP_2)
	v_lshrrev_b32_e32 v3, 23, v9
	v_and_or_b32 v14, v9, s27, 0x800000
	v_add_nc_u32_e32 v3, 0xffffff88, v3
	s_wait_xcnt 0x0
	s_and_saveexec_b32 s3, s31
	s_delay_alu instid0(SALU_CYCLE_1)
	s_xor_b32 s33, exec_lo, s3
	s_cbranch_execz .LBB4_12
; %bb.11:                               ;   in Loop: Header=BB4_2 Depth=1
	v_mul_u64_e32 v[10:11], s[24:25], v[14:15]
	v_mov_b32_e32 v17, v15
	v_cmp_lt_u32_e32 vcc_lo, 63, v3
	v_cndmask_b32_e64 v7, 0, 0xffffffc0, vcc_lo
	s_delay_alu instid0(VALU_DEP_4) | instskip(NEXT) | instid1(VALU_DEP_1)
	v_mov_b32_e32 v16, v11
	v_mad_nc_u64_u32 v[16:17], 0x3c439041, v14, v[16:17]
	s_delay_alu instid0(VALU_DEP_1) | instskip(NEXT) | instid1(VALU_DEP_1)
	v_dual_mov_b32 v19, v15 :: v_dual_mov_b32 v18, v17
	v_mad_nc_u64_u32 v[18:19], 0xdb629599, v14, v[18:19]
	s_delay_alu instid0(VALU_DEP_1) | instskip(NEXT) | instid1(VALU_DEP_2)
	v_dual_mov_b32 v21, v15 :: v_dual_mov_b32 v20, v19
	v_cndmask_b32_e32 v10, v18, v10, vcc_lo
	s_delay_alu instid0(VALU_DEP_2) | instskip(NEXT) | instid1(VALU_DEP_1)
	v_mad_nc_u64_u32 v[20:21], 0xf534ddc0, v14, v[20:21]
	v_dual_mov_b32 v23, v15 :: v_dual_mov_b32 v22, v21
	s_delay_alu instid0(VALU_DEP_1) | instskip(NEXT) | instid1(VALU_DEP_1)
	v_mad_nc_u64_u32 v[22:23], 0xfc2757d1, v14, v[22:23]
	v_dual_mov_b32 v25, v15 :: v_dual_mov_b32 v24, v23
	s_delay_alu instid0(VALU_DEP_1) | instskip(SKIP_1) | instid1(VALU_DEP_2)
	v_mad_nc_u64_u32 v[24:25], 0x4e441529, v14, v[24:25]
	v_add_nc_u32_e32 v7, v7, v3
	v_dual_mov_b32 v27, v15 :: v_dual_cndmask_b32 v17, v24, v20, vcc_lo
	s_delay_alu instid0(VALU_DEP_3) | instskip(NEXT) | instid1(VALU_DEP_3)
	v_mov_b32_e32 v26, v25
	v_cmp_lt_u32_e64 s3, 31, v7
	s_delay_alu instid0(VALU_DEP_2) | instskip(NEXT) | instid1(VALU_DEP_2)
	v_mad_nc_u64_u32 v[26:27], 0xa2f9836e, v14, v[26:27]
	v_cndmask_b32_e64 v11, 0, 0xffffffe0, s3
	s_delay_alu instid0(VALU_DEP_1) | instskip(NEXT) | instid1(VALU_DEP_1)
	v_dual_add_nc_u32 v7, v11, v7 :: v_dual_cndmask_b32 v19, v26, v22, vcc_lo
	v_cmp_lt_u32_e64 s4, 31, v7
	s_delay_alu instid0(VALU_DEP_4) | instskip(NEXT) | instid1(VALU_DEP_2)
	v_dual_cndmask_b32 v21, v27, v24 :: v_dual_cndmask_b32 v22, v22, v18
	v_cndmask_b32_e64 v11, 0, 0xffffffe0, s4
	s_delay_alu instid0(VALU_DEP_1) | instskip(NEXT) | instid1(VALU_DEP_3)
	v_dual_add_nc_u32 v7, v11, v7 :: v_dual_cndmask_b32 v11, v20, v16, vcc_lo
	v_dual_cndmask_b32 v16, v19, v17, s3 :: v_dual_cndmask_b32 v19, v21, v19, s3
	s_delay_alu instid0(VALU_DEP_2) | instskip(NEXT) | instid1(VALU_DEP_3)
	v_dual_cndmask_b32 v17, v17, v22, s3 :: v_dual_sub_nc_u32 v20, 32, v7
	v_cndmask_b32_e64 v21, v22, v11, s3
	v_cmp_eq_u32_e32 vcc_lo, 0, v7
	s_delay_alu instid0(VALU_DEP_3) | instskip(NEXT) | instid1(VALU_DEP_1)
	v_dual_cndmask_b32 v19, v19, v16, s4 :: v_dual_cndmask_b32 v16, v16, v17, s4
	v_alignbit_b32 v22, v19, v16, v20
	s_delay_alu instid0(VALU_DEP_1) | instskip(NEXT) | instid1(VALU_DEP_1)
	v_dual_cndmask_b32 v17, v17, v21, s4 :: v_dual_cndmask_b32 v7, v22, v19, vcc_lo
	v_alignbit_b32 v18, v16, v17, v20
	s_delay_alu instid0(VALU_DEP_1) | instskip(NEXT) | instid1(VALU_DEP_3)
	v_dual_cndmask_b32 v10, v11, v10, s3 :: v_dual_cndmask_b32 v11, v18, v16, vcc_lo
	v_bfe_u32 v16, v7, 29, 1
	s_delay_alu instid0(VALU_DEP_2) | instskip(NEXT) | instid1(VALU_DEP_3)
	v_cndmask_b32_e64 v10, v21, v10, s4
	v_alignbit_b32 v18, v7, v11, 30
	s_delay_alu instid0(VALU_DEP_3) | instskip(NEXT) | instid1(VALU_DEP_3)
	v_sub_nc_u32_e32 v19, 0, v16
	v_alignbit_b32 v20, v17, v10, v20
	s_delay_alu instid0(VALU_DEP_1) | instskip(NEXT) | instid1(VALU_DEP_1)
	v_dual_cndmask_b32 v17, v20, v17, vcc_lo :: v_dual_bitop2_b32 v18, v18, v19 bitop3:0x14
	v_clz_i32_u32_e32 v20, v18
	s_delay_alu instid0(VALU_DEP_2) | instskip(SKIP_1) | instid1(VALU_DEP_3)
	v_alignbit_b32 v11, v11, v17, 30
	v_alignbit_b32 v10, v17, v10, 30
	v_min_u32_e32 v20, 32, v20
	s_delay_alu instid0(VALU_DEP_3) | instskip(NEXT) | instid1(VALU_DEP_3)
	v_xor_b32_e32 v11, v11, v19
	v_xor_b32_e32 v10, v10, v19
	v_dual_lshrrev_b32 v19, 29, v7 :: v_dual_lshrrev_b32 v7, 30, v7
	s_delay_alu instid0(VALU_DEP_4) | instskip(NEXT) | instid1(VALU_DEP_2)
	v_dual_sub_nc_u32 v17, 31, v20 :: v_dual_lshlrev_b32 v21, 23, v20
	v_add_nc_u32_e32 v16, v16, v7
	s_delay_alu instid0(VALU_DEP_2) | instskip(SKIP_2) | instid1(VALU_DEP_2)
	v_alignbit_b32 v18, v18, v11, v17
	v_alignbit_b32 v10, v11, v10, v17
	v_lshlrev_b32_e32 v11, 31, v19
	v_alignbit_b32 v17, v18, v10, 9
	s_delay_alu instid0(VALU_DEP_2) | instskip(SKIP_1) | instid1(VALU_DEP_3)
	v_dual_lshrrev_b32 v18, 9, v18 :: v_dual_bitop2_b32 v19, 0.5, v11 bitop3:0x54
	v_or_b32_e32 v11, 0x33000000, v11
	v_clz_i32_u32_e32 v22, v17
	s_delay_alu instid0(VALU_DEP_3) | instskip(NEXT) | instid1(VALU_DEP_2)
	v_sub_nc_u32_e32 v19, v19, v21
	v_min_u32_e32 v21, 32, v22
	s_delay_alu instid0(VALU_DEP_1) | instskip(NEXT) | instid1(VALU_DEP_3)
	v_add_lshl_u32 v20, v21, v20, 23
	v_or_b32_e32 v18, v18, v19
	v_not_b32_e32 v19, v21
	s_delay_alu instid0(VALU_DEP_2) | instskip(NEXT) | instid1(VALU_DEP_2)
	v_dual_mul_f32 v22, 0x3fc90fda, v18 :: v_dual_sub_nc_u32 v11, v11, v20
	v_alignbit_b32 v10, v17, v10, v19
	s_delay_alu instid0(VALU_DEP_2) | instskip(NEXT) | instid1(VALU_DEP_2)
	v_fma_f32 v17, 0x3fc90fda, v18, -v22
	v_lshrrev_b32_e32 v10, 9, v10
	s_delay_alu instid0(VALU_DEP_2) | instskip(NEXT) | instid1(VALU_DEP_2)
	v_fmac_f32_e32 v17, 0x33a22168, v18
	v_or_b32_e32 v10, v11, v10
	s_delay_alu instid0(VALU_DEP_1) | instskip(NEXT) | instid1(VALU_DEP_1)
	v_fmac_f32_e32 v17, 0x3fc90fda, v10
	v_add_f32_e32 v10, v22, v17
.LBB4_12:                               ;   in Loop: Header=BB4_2 Depth=1
	s_or_saveexec_b32 s3, s33
	v_mul_f32_e64 v7, 0x3f22f983, |v6|
	s_delay_alu instid0(VALU_DEP_1)
	v_rndne_f32_e32 v7, v7
	s_xor_b32 exec_lo, exec_lo, s3
; %bb.13:                               ;   in Loop: Header=BB4_2 Depth=1
	s_delay_alu instid0(VALU_DEP_1) | instskip(SKIP_1) | instid1(VALU_DEP_2)
	v_fma_f32 v10, 0xbfc90fda, v7, |v6|
	v_cvt_i32_f32_e32 v16, v7
	v_fmac_f32_e32 v10, 0xb3a22168, v7
	s_delay_alu instid0(VALU_DEP_1)
	v_fmac_f32_e32 v10, 0xa7c234c4, v7
; %bb.14:                               ;   in Loop: Header=BB4_2 Depth=1
	s_or_b32 exec_lo, exec_lo, s3
                                        ; implicit-def: $vgpr19
                                        ; implicit-def: $vgpr17
	s_and_saveexec_b32 s3, s31
	s_delay_alu instid0(SALU_CYCLE_1)
	s_xor_b32 s31, exec_lo, s3
	s_cbranch_execz .LBB4_16
; %bb.15:                               ;   in Loop: Header=BB4_2 Depth=1
	v_mul_u64_e32 v[18:19], s[24:25], v[14:15]
	v_mov_b32_e32 v21, v15
	v_cmp_lt_u32_e32 vcc_lo, 63, v3
	v_cndmask_b32_e64 v7, 0, 0xffffffc0, vcc_lo
	s_delay_alu instid0(VALU_DEP_4) | instskip(NEXT) | instid1(VALU_DEP_1)
	v_mov_b32_e32 v20, v19
	v_mad_nc_u64_u32 v[20:21], 0x3c439041, v14, v[20:21]
	s_delay_alu instid0(VALU_DEP_1) | instskip(NEXT) | instid1(VALU_DEP_1)
	v_dual_mov_b32 v23, v15 :: v_dual_mov_b32 v22, v21
	v_mad_nc_u64_u32 v[22:23], 0xdb629599, v14, v[22:23]
	s_delay_alu instid0(VALU_DEP_1) | instskip(NEXT) | instid1(VALU_DEP_2)
	v_dual_mov_b32 v25, v15 :: v_dual_mov_b32 v24, v23
	v_cndmask_b32_e32 v18, v22, v18, vcc_lo
	s_delay_alu instid0(VALU_DEP_2) | instskip(NEXT) | instid1(VALU_DEP_1)
	v_mad_nc_u64_u32 v[24:25], 0xf534ddc0, v14, v[24:25]
	v_dual_mov_b32 v27, v15 :: v_dual_mov_b32 v26, v25
	s_delay_alu instid0(VALU_DEP_1) | instskip(NEXT) | instid1(VALU_DEP_1)
	v_mad_nc_u64_u32 v[26:27], 0xfc2757d1, v14, v[26:27]
	v_dual_mov_b32 v29, v15 :: v_dual_mov_b32 v28, v27
	s_delay_alu instid0(VALU_DEP_2) | instskip(NEXT) | instid1(VALU_DEP_2)
	v_cndmask_b32_e32 v19, v26, v22, vcc_lo
	v_mad_nc_u64_u32 v[28:29], 0x4e441529, v14, v[28:29]
	v_add_nc_u32_e32 v3, v7, v3
	s_delay_alu instid0(VALU_DEP_2) | instskip(NEXT) | instid1(VALU_DEP_3)
	v_dual_mov_b32 v31, v15 :: v_dual_cndmask_b32 v11, v28, v24, vcc_lo
	v_mov_b32_e32 v30, v29
	s_delay_alu instid0(VALU_DEP_3) | instskip(NEXT) | instid1(VALU_DEP_2)
	v_cmp_lt_u32_e64 s3, 31, v3
	v_mad_nc_u64_u32 v[30:31], 0xa2f9836e, v14, v[30:31]
	s_delay_alu instid0(VALU_DEP_2) | instskip(NEXT) | instid1(VALU_DEP_1)
	v_cndmask_b32_e64 v7, 0, 0xffffffe0, s3
	v_dual_cndmask_b32 v14, v30, v26 :: v_dual_add_nc_u32 v3, v7, v3
	s_delay_alu instid0(VALU_DEP_1) | instskip(NEXT) | instid1(VALU_DEP_4)
	v_cmp_lt_u32_e64 s4, 31, v3
	v_cndmask_b32_e32 v17, v31, v28, vcc_lo
	s_delay_alu instid0(VALU_DEP_2) | instskip(NEXT) | instid1(VALU_DEP_1)
	v_cndmask_b32_e64 v7, 0, 0xffffffe0, s4
	v_dual_add_nc_u32 v3, v7, v3 :: v_dual_cndmask_b32 v7, v24, v20, vcc_lo
	s_delay_alu instid0(VALU_DEP_3) | instskip(SKIP_1) | instid1(VALU_DEP_3)
	v_dual_cndmask_b32 v20, v14, v11, s3 :: v_dual_cndmask_b32 v14, v17, v14, s3
	v_cndmask_b32_e64 v11, v11, v19, s3
	v_sub_nc_u32_e32 v17, 32, v3
	v_cmp_eq_u32_e32 vcc_lo, 0, v3
	s_delay_alu instid0(VALU_DEP_3) | instskip(NEXT) | instid1(VALU_DEP_1)
	v_dual_cndmask_b32 v14, v14, v20, s4 :: v_dual_cndmask_b32 v20, v20, v11, s4
	v_alignbit_b32 v21, v14, v20, v17
	v_cndmask_b32_e64 v19, v19, v7, s3
	v_cndmask_b32_e64 v7, v7, v18, s3
	s_delay_alu instid0(VALU_DEP_2) | instskip(NEXT) | instid1(VALU_DEP_1)
	v_dual_cndmask_b32 v3, v21, v14, vcc_lo :: v_dual_cndmask_b32 v11, v11, v19, s4
	v_bfe_u32 v18, v3, 29, 1
	s_delay_alu instid0(VALU_DEP_2) | instskip(NEXT) | instid1(VALU_DEP_1)
	v_alignbit_b32 v22, v20, v11, v17
	v_dual_cndmask_b32 v7, v19, v7, s4 :: v_dual_cndmask_b32 v14, v22, v20, vcc_lo
	s_delay_alu instid0(VALU_DEP_3) | instskip(NEXT) | instid1(VALU_DEP_2)
	v_sub_nc_u32_e32 v20, 0, v18
	v_alignbit_b32 v17, v11, v7, v17
	s_delay_alu instid0(VALU_DEP_3) | instskip(NEXT) | instid1(VALU_DEP_1)
	v_alignbit_b32 v19, v3, v14, 30
	v_dual_cndmask_b32 v11, v17, v11, vcc_lo :: v_dual_bitop2_b32 v19, v19, v20 bitop3:0x14
	s_delay_alu instid0(VALU_DEP_1) | instskip(SKIP_1) | instid1(VALU_DEP_3)
	v_alignbit_b32 v14, v14, v11, 30
	v_alignbit_b32 v7, v11, v7, 30
	v_clz_i32_u32_e32 v17, v19
	s_delay_alu instid0(VALU_DEP_2) | instskip(NEXT) | instid1(VALU_DEP_2)
	v_xor_b32_e32 v7, v7, v20
	v_min_u32_e32 v17, 32, v17
	v_dual_lshrrev_b32 v20, 29, v3 :: v_dual_bitop2_b32 v11, v14, v20 bitop3:0x14
	s_delay_alu instid0(VALU_DEP_2) | instskip(SKIP_1) | instid1(VALU_DEP_2)
	v_dual_lshrrev_b32 v3, 30, v3 :: v_dual_sub_nc_u32 v14, 31, v17
	v_lshlrev_b32_e32 v21, 23, v17
	v_alignbit_b32 v19, v19, v11, v14
	v_alignbit_b32 v7, v11, v7, v14
	v_lshlrev_b32_e32 v11, 31, v20
	s_delay_alu instid0(VALU_DEP_2) | instskip(NEXT) | instid1(VALU_DEP_2)
	v_alignbit_b32 v14, v19, v7, 9
	v_or_b32_e32 v20, 0.5, v11
	v_lshrrev_b32_e32 v19, 9, v19
	v_or_b32_e32 v11, 0x33000000, v11
	s_delay_alu instid0(VALU_DEP_4) | instskip(NEXT) | instid1(VALU_DEP_4)
	v_clz_i32_u32_e32 v22, v14
	v_sub_nc_u32_e32 v20, v20, v21
	s_delay_alu instid0(VALU_DEP_2) | instskip(NEXT) | instid1(VALU_DEP_2)
	v_min_u32_e32 v21, 32, v22
	v_or_b32_e32 v19, v19, v20
	s_delay_alu instid0(VALU_DEP_2) | instskip(SKIP_1) | instid1(VALU_DEP_2)
	v_not_b32_e32 v20, v21
	v_add_lshl_u32 v17, v21, v17, 23
	v_alignbit_b32 v7, v14, v7, v20
	s_delay_alu instid0(VALU_DEP_1) | instskip(SKIP_1) | instid1(VALU_DEP_2)
	v_dual_sub_nc_u32 v11, v11, v17 :: v_dual_lshrrev_b32 v7, 9, v7
	v_mul_f32_e32 v22, 0x3fc90fda, v19
	v_or_b32_e32 v7, v11, v7
	s_delay_alu instid0(VALU_DEP_2) | instskip(NEXT) | instid1(VALU_DEP_1)
	v_fma_f32 v14, 0x3fc90fda, v19, -v22
	v_fmac_f32_e32 v14, 0x33a22168, v19
	v_add_nc_u32_e32 v19, v18, v3
	s_delay_alu instid0(VALU_DEP_2) | instskip(NEXT) | instid1(VALU_DEP_1)
	v_fmac_f32_e32 v14, 0x3fc90fda, v7
                                        ; implicit-def: $vgpr7
	v_add_f32_e32 v17, v22, v14
	s_and_not1_saveexec_b32 s3, s31
	s_cbranch_execnz .LBB4_17
	s_branch .LBB4_18
.LBB4_16:                               ;   in Loop: Header=BB4_2 Depth=1
	s_and_not1_saveexec_b32 s3, s31
.LBB4_17:                               ;   in Loop: Header=BB4_2 Depth=1
	v_fma_f32 v17, 0xbfc90fda, v7, |v6|
	v_cvt_i32_f32_e32 v19, v7
	s_delay_alu instid0(VALU_DEP_2) | instskip(NEXT) | instid1(VALU_DEP_1)
	v_fmac_f32_e32 v17, 0xb3a22168, v7
	v_fmac_f32_e32 v17, 0xa7c234c4, v7
.LBB4_18:                               ;   in Loop: Header=BB4_2 Depth=1
	s_or_b32 exec_lo, exec_lo, s3
	v_add_nc_u64_e32 v[20:21], s[16:17], v[12:13]
                                        ; implicit-def: $vgpr22
	global_load_b32 v18, v[20:21], off
                                        ; implicit-def: $vgpr21
	s_wait_loadcnt 0x0
	v_and_b32_e32 v20, 0x7fffffff, v18
	v_cmp_ngt_f32_e64 s31, 0x48000000, |v18|
	s_delay_alu instid0(VALU_DEP_2) | instskip(SKIP_1) | instid1(VALU_DEP_2)
	v_lshrrev_b32_e32 v3, 23, v20
	v_and_or_b32 v14, v20, s27, 0x800000
	v_add_nc_u32_e32 v3, 0xffffff88, v3
	s_and_saveexec_b32 s3, s31
	s_delay_alu instid0(SALU_CYCLE_1)
	s_xor_b32 s33, exec_lo, s3
	s_cbranch_execz .LBB4_20
; %bb.19:                               ;   in Loop: Header=BB4_2 Depth=1
	v_mul_u64_e32 v[22:23], s[24:25], v[14:15]
	v_mov_b32_e32 v25, v15
	v_cmp_lt_u32_e32 vcc_lo, 63, v3
	v_cndmask_b32_e64 v7, 0, 0xffffffc0, vcc_lo
	s_delay_alu instid0(VALU_DEP_4) | instskip(NEXT) | instid1(VALU_DEP_1)
	v_mov_b32_e32 v24, v23
	v_mad_nc_u64_u32 v[24:25], 0x3c439041, v14, v[24:25]
	s_delay_alu instid0(VALU_DEP_1) | instskip(NEXT) | instid1(VALU_DEP_1)
	v_dual_mov_b32 v27, v15 :: v_dual_mov_b32 v26, v25
	v_mad_nc_u64_u32 v[26:27], 0xdb629599, v14, v[26:27]
	s_delay_alu instid0(VALU_DEP_1) | instskip(NEXT) | instid1(VALU_DEP_2)
	v_dual_mov_b32 v29, v15 :: v_dual_mov_b32 v28, v27
	v_cndmask_b32_e32 v22, v26, v22, vcc_lo
	s_delay_alu instid0(VALU_DEP_2) | instskip(NEXT) | instid1(VALU_DEP_1)
	v_mad_nc_u64_u32 v[28:29], 0xf534ddc0, v14, v[28:29]
	v_dual_mov_b32 v31, v15 :: v_dual_mov_b32 v30, v29
	s_delay_alu instid0(VALU_DEP_1) | instskip(NEXT) | instid1(VALU_DEP_1)
	v_mad_nc_u64_u32 v[30:31], 0xfc2757d1, v14, v[30:31]
	v_dual_mov_b32 v33, v15 :: v_dual_mov_b32 v32, v31
	s_delay_alu instid0(VALU_DEP_2) | instskip(NEXT) | instid1(VALU_DEP_2)
	v_cndmask_b32_e32 v27, v30, v26, vcc_lo
	v_mad_nc_u64_u32 v[32:33], 0x4e441529, v14, v[32:33]
	v_add_nc_u32_e32 v7, v7, v3
	s_delay_alu instid0(VALU_DEP_2) | instskip(NEXT) | instid1(VALU_DEP_3)
	v_dual_mov_b32 v35, v15 :: v_dual_cndmask_b32 v21, v32, v28, vcc_lo
	v_mov_b32_e32 v34, v33
	s_delay_alu instid0(VALU_DEP_3) | instskip(NEXT) | instid1(VALU_DEP_2)
	v_cmp_lt_u32_e64 s3, 31, v7
	v_mad_nc_u64_u32 v[34:35], 0xa2f9836e, v14, v[34:35]
	s_delay_alu instid0(VALU_DEP_2) | instskip(NEXT) | instid1(VALU_DEP_1)
	v_cndmask_b32_e64 v11, 0, 0xffffffe0, s3
	v_dual_add_nc_u32 v7, v11, v7 :: v_dual_cndmask_b32 v23, v34, v30, vcc_lo
	s_delay_alu instid0(VALU_DEP_1) | instskip(NEXT) | instid1(VALU_DEP_4)
	v_cmp_lt_u32_e64 s4, 31, v7
	v_cndmask_b32_e32 v25, v35, v32, vcc_lo
	s_delay_alu instid0(VALU_DEP_2) | instskip(NEXT) | instid1(VALU_DEP_1)
	v_cndmask_b32_e64 v11, 0, 0xffffffe0, s4
	v_dual_add_nc_u32 v7, v11, v7 :: v_dual_cndmask_b32 v11, v28, v24, vcc_lo
	s_delay_alu instid0(VALU_DEP_3) | instskip(SKIP_1) | instid1(VALU_DEP_3)
	v_dual_cndmask_b32 v24, v23, v21, s3 :: v_dual_cndmask_b32 v23, v25, v23, s3
	v_cndmask_b32_e64 v21, v21, v27, s3
	v_sub_nc_u32_e32 v25, 32, v7
	s_delay_alu instid0(VALU_DEP_4) | instskip(SKIP_1) | instid1(VALU_DEP_4)
	v_cndmask_b32_e64 v27, v27, v11, s3
	v_cmp_eq_u32_e32 vcc_lo, 0, v7
	v_dual_cndmask_b32 v23, v23, v24, s4 :: v_dual_cndmask_b32 v24, v24, v21, s4
	s_delay_alu instid0(VALU_DEP_3) | instskip(NEXT) | instid1(VALU_DEP_2)
	v_dual_cndmask_b32 v11, v11, v22, s3 :: v_dual_cndmask_b32 v21, v21, v27, s4
	v_alignbit_b32 v28, v23, v24, v25
	s_delay_alu instid0(VALU_DEP_2) | instskip(NEXT) | instid1(VALU_DEP_1)
	v_alignbit_b32 v26, v24, v21, v25
	v_dual_cndmask_b32 v7, v28, v23 :: v_dual_cndmask_b32 v22, v26, v24
	s_delay_alu instid0(VALU_DEP_1) | instskip(NEXT) | instid1(VALU_DEP_2)
	v_bfe_u32 v23, v7, 29, 1
	v_alignbit_b32 v24, v7, v22, 30
	s_delay_alu instid0(VALU_DEP_2) | instskip(NEXT) | instid1(VALU_DEP_1)
	v_sub_nc_u32_e32 v26, 0, v23
	v_dual_cndmask_b32 v11, v27, v11, s4 :: v_dual_bitop2_b32 v24, v24, v26 bitop3:0x14
	s_delay_alu instid0(VALU_DEP_1) | instskip(NEXT) | instid1(VALU_DEP_1)
	v_alignbit_b32 v25, v21, v11, v25
	v_cndmask_b32_e32 v21, v25, v21, vcc_lo
	s_delay_alu instid0(VALU_DEP_3) | instskip(NEXT) | instid1(VALU_DEP_2)
	v_clz_i32_u32_e32 v25, v24
	v_alignbit_b32 v22, v22, v21, 30
	s_delay_alu instid0(VALU_DEP_2) | instskip(SKIP_1) | instid1(VALU_DEP_2)
	v_min_u32_e32 v25, 32, v25
	v_alignbit_b32 v11, v21, v11, 30
	v_dual_sub_nc_u32 v22, 31, v25 :: v_dual_bitop2_b32 v21, v22, v26 bitop3:0x14
	s_delay_alu instid0(VALU_DEP_2) | instskip(SKIP_1) | instid1(VALU_DEP_3)
	v_dual_lshrrev_b32 v26, 29, v7 :: v_dual_bitop2_b32 v11, v11, v26 bitop3:0x14
	v_dual_lshlrev_b32 v27, 23, v25 :: v_dual_lshrrev_b32 v7, 30, v7
	v_alignbit_b32 v24, v24, v21, v22
	s_delay_alu instid0(VALU_DEP_3) | instskip(NEXT) | instid1(VALU_DEP_4)
	v_alignbit_b32 v11, v21, v11, v22
	v_lshlrev_b32_e32 v21, 31, v26
	s_delay_alu instid0(VALU_DEP_2) | instskip(NEXT) | instid1(VALU_DEP_2)
	v_alignbit_b32 v22, v24, v11, 9
	v_dual_lshrrev_b32 v24, 9, v24 :: v_dual_bitop2_b32 v26, 0.5, v21 bitop3:0x54
	v_or_b32_e32 v21, 0x33000000, v21
	s_delay_alu instid0(VALU_DEP_3) | instskip(NEXT) | instid1(VALU_DEP_3)
	v_clz_i32_u32_e32 v28, v22
	v_sub_nc_u32_e32 v26, v26, v27
	s_delay_alu instid0(VALU_DEP_2) | instskip(NEXT) | instid1(VALU_DEP_1)
	v_min_u32_e32 v27, 32, v28
	v_add_lshl_u32 v25, v27, v25, 23
	s_delay_alu instid0(VALU_DEP_1) | instskip(SKIP_1) | instid1(VALU_DEP_1)
	v_dual_sub_nc_u32 v21, v21, v25 :: v_dual_bitop2_b32 v24, v24, v26 bitop3:0x54
	v_not_b32_e32 v26, v27
	v_alignbit_b32 v11, v22, v11, v26
	s_delay_alu instid0(VALU_DEP_1) | instskip(NEXT) | instid1(VALU_DEP_1)
	v_dual_mul_f32 v28, 0x3fc90fda, v24 :: v_dual_lshrrev_b32 v11, 9, v11
	v_or_b32_e32 v11, v21, v11
	s_delay_alu instid0(VALU_DEP_2) | instskip(NEXT) | instid1(VALU_DEP_1)
	v_fma_f32 v22, 0x3fc90fda, v24, -v28
	v_fmac_f32_e32 v22, 0x33a22168, v24
	s_delay_alu instid0(VALU_DEP_1) | instskip(NEXT) | instid1(VALU_DEP_1)
	v_fmac_f32_e32 v22, 0x3fc90fda, v11
	v_dual_add_f32 v21, v28, v22 :: v_dual_add_nc_u32 v22, v23, v7
.LBB4_20:                               ;   in Loop: Header=BB4_2 Depth=1
	s_or_saveexec_b32 s3, s33
	v_mul_f32_e64 v7, 0x3f22f983, |v18|
	s_delay_alu instid0(VALU_DEP_1)
	v_rndne_f32_e32 v7, v7
	s_xor_b32 exec_lo, exec_lo, s3
; %bb.21:                               ;   in Loop: Header=BB4_2 Depth=1
	s_delay_alu instid0(VALU_DEP_1) | instskip(SKIP_1) | instid1(VALU_DEP_2)
	v_fma_f32 v21, 0xbfc90fda, v7, |v18|
	v_cvt_i32_f32_e32 v22, v7
	v_fmac_f32_e32 v21, 0xb3a22168, v7
	s_delay_alu instid0(VALU_DEP_1)
	v_fmac_f32_e32 v21, 0xa7c234c4, v7
; %bb.22:                               ;   in Loop: Header=BB4_2 Depth=1
	s_or_b32 exec_lo, exec_lo, s3
                                        ; implicit-def: $vgpr24
                                        ; implicit-def: $vgpr23
	s_and_saveexec_b32 s3, s31
	s_delay_alu instid0(SALU_CYCLE_1)
	s_xor_b32 s31, exec_lo, s3
	s_cbranch_execz .LBB4_24
; %bb.23:                               ;   in Loop: Header=BB4_2 Depth=1
	v_mul_u64_e32 v[24:25], s[24:25], v[14:15]
	v_mov_b32_e32 v27, v15
	v_cmp_lt_u32_e32 vcc_lo, 63, v3
	v_cndmask_b32_e64 v7, 0, 0xffffffc0, vcc_lo
	s_delay_alu instid0(VALU_DEP_4) | instskip(NEXT) | instid1(VALU_DEP_1)
	v_mov_b32_e32 v26, v25
	v_mad_nc_u64_u32 v[26:27], 0x3c439041, v14, v[26:27]
	s_delay_alu instid0(VALU_DEP_1) | instskip(NEXT) | instid1(VALU_DEP_1)
	v_dual_mov_b32 v29, v15 :: v_dual_mov_b32 v28, v27
	v_mad_nc_u64_u32 v[28:29], 0xdb629599, v14, v[28:29]
	s_delay_alu instid0(VALU_DEP_1) | instskip(NEXT) | instid1(VALU_DEP_1)
	v_dual_mov_b32 v31, v15 :: v_dual_mov_b32 v30, v29
	;; [unrolled: 3-line block ×3, first 2 shown]
	v_mad_nc_u64_u32 v[32:33], 0xfc2757d1, v14, v[32:33]
	s_delay_alu instid0(VALU_DEP_1) | instskip(NEXT) | instid1(VALU_DEP_2)
	v_dual_mov_b32 v35, v15 :: v_dual_mov_b32 v34, v33
	v_cndmask_b32_e32 v25, v32, v28, vcc_lo
	s_delay_alu instid0(VALU_DEP_2) | instskip(SKIP_1) | instid1(VALU_DEP_2)
	v_mad_nc_u64_u32 v[34:35], 0x4e441529, v14, v[34:35]
	v_add_nc_u32_e32 v3, v7, v3
	v_dual_mov_b32 v37, v15 :: v_dual_mov_b32 v36, v35
	s_delay_alu instid0(VALU_DEP_3) | instskip(NEXT) | instid1(VALU_DEP_3)
	v_cndmask_b32_e32 v11, v34, v30, vcc_lo
	v_cmp_lt_u32_e64 s3, 31, v3
	s_delay_alu instid0(VALU_DEP_3) | instskip(NEXT) | instid1(VALU_DEP_2)
	v_mad_nc_u64_u32 v[36:37], 0xa2f9836e, v14, v[36:37]
	v_cndmask_b32_e64 v7, 0, 0xffffffe0, s3
	s_delay_alu instid0(VALU_DEP_1) | instskip(NEXT) | instid1(VALU_DEP_1)
	v_dual_cndmask_b32 v14, v36, v32 :: v_dual_add_nc_u32 v3, v7, v3
	v_cmp_lt_u32_e64 s4, 31, v3
	s_delay_alu instid0(VALU_DEP_4) | instskip(NEXT) | instid1(VALU_DEP_2)
	v_cndmask_b32_e32 v23, v37, v34, vcc_lo
	v_cndmask_b32_e64 v7, 0, 0xffffffe0, s4
	s_delay_alu instid0(VALU_DEP_1) | instskip(NEXT) | instid1(VALU_DEP_3)
	v_dual_add_nc_u32 v3, v7, v3 :: v_dual_cndmask_b32 v7, v30, v26, vcc_lo
	v_dual_cndmask_b32 v26, v14, v11, s3 :: v_dual_cndmask_b32 v14, v23, v14, s3
	s_delay_alu instid0(VALU_DEP_2) | instskip(NEXT) | instid1(VALU_DEP_2)
	v_dual_cndmask_b32 v11, v11, v25, s3 :: v_dual_sub_nc_u32 v23, 32, v3
	v_dual_cndmask_b32 v25, v25, v7, s3 :: v_dual_cndmask_b32 v14, v14, v26, s4
	s_delay_alu instid0(VALU_DEP_1) | instskip(NEXT) | instid1(VALU_DEP_1)
	v_dual_cndmask_b32 v26, v26, v11, s4 :: v_dual_cndmask_b32 v11, v11, v25, s4
	v_alignbit_b32 v27, v14, v26, v23
	v_cndmask_b32_e32 v24, v28, v24, vcc_lo
	v_cmp_eq_u32_e32 vcc_lo, 0, v3
	s_delay_alu instid0(VALU_DEP_4) | instskip(NEXT) | instid1(VALU_DEP_4)
	v_alignbit_b32 v28, v26, v11, v23
	v_cndmask_b32_e32 v3, v27, v14, vcc_lo
	s_delay_alu instid0(VALU_DEP_2) | instskip(NEXT) | instid1(VALU_DEP_2)
	v_dual_cndmask_b32 v7, v7, v24, s3 :: v_dual_cndmask_b32 v14, v28, v26, vcc_lo
	v_bfe_u32 v24, v3, 29, 1
	s_delay_alu instid0(VALU_DEP_2) | instskip(NEXT) | instid1(VALU_DEP_3)
	v_cndmask_b32_e64 v7, v25, v7, s4
	v_alignbit_b32 v25, v3, v14, 30
	s_delay_alu instid0(VALU_DEP_3) | instskip(NEXT) | instid1(VALU_DEP_3)
	v_sub_nc_u32_e32 v26, 0, v24
	v_alignbit_b32 v23, v11, v7, v23
	s_delay_alu instid0(VALU_DEP_1) | instskip(NEXT) | instid1(VALU_DEP_1)
	v_dual_cndmask_b32 v11, v23, v11, vcc_lo :: v_dual_bitop2_b32 v25, v25, v26 bitop3:0x14
	v_clz_i32_u32_e32 v23, v25
	s_delay_alu instid0(VALU_DEP_2) | instskip(SKIP_1) | instid1(VALU_DEP_3)
	v_alignbit_b32 v14, v14, v11, 30
	v_alignbit_b32 v7, v11, v7, 30
	v_min_u32_e32 v23, 32, v23
	s_delay_alu instid0(VALU_DEP_3) | instskip(NEXT) | instid1(VALU_DEP_3)
	v_xor_b32_e32 v11, v14, v26
	v_dual_lshrrev_b32 v26, 29, v3 :: v_dual_bitop2_b32 v7, v7, v26 bitop3:0x14
	v_lshrrev_b32_e32 v3, 30, v3
	s_delay_alu instid0(VALU_DEP_4) | instskip(NEXT) | instid1(VALU_DEP_2)
	v_dual_sub_nc_u32 v14, 31, v23 :: v_dual_lshlrev_b32 v27, 23, v23
	v_add_nc_u32_e32 v24, v24, v3
	s_delay_alu instid0(VALU_DEP_2) | instskip(SKIP_2) | instid1(VALU_DEP_2)
	v_alignbit_b32 v25, v25, v11, v14
	v_alignbit_b32 v7, v11, v7, v14
	v_lshlrev_b32_e32 v11, 31, v26
	v_alignbit_b32 v14, v25, v7, 9
	s_delay_alu instid0(VALU_DEP_2) | instskip(SKIP_1) | instid1(VALU_DEP_3)
	v_dual_lshrrev_b32 v25, 9, v25 :: v_dual_bitop2_b32 v26, 0.5, v11 bitop3:0x54
	v_or_b32_e32 v11, 0x33000000, v11
	v_clz_i32_u32_e32 v28, v14
	s_delay_alu instid0(VALU_DEP_3) | instskip(NEXT) | instid1(VALU_DEP_2)
	v_sub_nc_u32_e32 v26, v26, v27
	v_min_u32_e32 v27, 32, v28
	s_delay_alu instid0(VALU_DEP_1) | instskip(NEXT) | instid1(VALU_DEP_3)
	v_add_lshl_u32 v23, v27, v23, 23
	v_or_b32_e32 v25, v25, v26
	v_not_b32_e32 v26, v27
	s_delay_alu instid0(VALU_DEP_3) | instskip(NEXT) | instid1(VALU_DEP_2)
	v_sub_nc_u32_e32 v11, v11, v23
	v_alignbit_b32 v7, v14, v7, v26
	s_delay_alu instid0(VALU_DEP_1) | instskip(NEXT) | instid1(VALU_DEP_1)
	v_dual_mul_f32 v28, 0x3fc90fda, v25 :: v_dual_lshrrev_b32 v7, 9, v7
	v_fma_f32 v14, 0x3fc90fda, v25, -v28
	s_delay_alu instid0(VALU_DEP_2) | instskip(NEXT) | instid1(VALU_DEP_2)
	v_or_b32_e32 v7, v11, v7
	v_fmac_f32_e32 v14, 0x33a22168, v25
	s_delay_alu instid0(VALU_DEP_1) | instskip(NEXT) | instid1(VALU_DEP_1)
	v_fmac_f32_e32 v14, 0x3fc90fda, v7
                                        ; implicit-def: $vgpr7
	v_add_f32_e32 v23, v28, v14
	s_and_not1_saveexec_b32 s3, s31
	s_cbranch_execz .LBB4_1
	s_branch .LBB4_25
.LBB4_24:                               ;   in Loop: Header=BB4_2 Depth=1
	s_and_not1_saveexec_b32 s3, s31
	s_cbranch_execz .LBB4_1
.LBB4_25:                               ;   in Loop: Header=BB4_2 Depth=1
	v_fma_f32 v23, 0xbfc90fda, v7, |v18|
	v_cvt_i32_f32_e32 v24, v7
	s_delay_alu instid0(VALU_DEP_2) | instskip(NEXT) | instid1(VALU_DEP_1)
	v_fmac_f32_e32 v23, 0xb3a22168, v7
	v_fmac_f32_e32 v23, 0xa7c234c4, v7
	s_branch .LBB4_1
.LBB4_26:
	s_clause 0x13
	scratch_load_b128 v[0:3], off, off offset:400
	scratch_load_b128 v[4:7], off, off offset:432
	;; [unrolled: 1-line block ×20, first 2 shown]
	s_clause 0x1
	s_load_b64 s[14:15], s[0:1], 0x0
	s_load_b128 s[4:7], s[0:1], 0x48
	scratch_load_b128 v[80:83], off, off offset:464
	s_add_nc_u64 s[8:9], s[8:9], 8
	s_mov_b32 s13, 0
	s_mov_b32 s12, 0x42340000
	s_wait_kmcnt 0x0
	s_max_i32 s17, s15, 1
	s_max_i32 s19, s14, 1
	s_wait_loadcnt 0x0
	scratch_store_b128 off, v[80:83], off offset:1152 ; 16-byte Folded Spill
	s_wait_xcnt 0x0
	v_dual_mov_b32 v80, v3 :: v_dual_mov_b32 v81, v7
	v_mov_b32_e32 v3, v6
	scratch_store_b64 off, v[80:81], off offset:1168 ; 8-byte Folded Spill
	s_wait_xcnt 0x0
	v_dual_mov_b32 v80, v0 :: v_dual_mov_b32 v81, v4
	v_mov_b32_e32 v4, v1
	scratch_store_b128 off, v[0:3], off offset:832 ; 16-byte Folded Spill
	s_wait_xcnt 0x0
	v_dual_mov_b32 v0, v11 :: v_dual_mov_b32 v1, v15
	s_clause 0x1
	scratch_store_b64 off, v[80:81], off offset:1176
	scratch_store_b128 off, v[4:7], off offset:848
	v_mov_b32_e32 v11, v14
	scratch_store_b64 off, v[0:1], off offset:1184 ; 8-byte Folded Spill
	s_wait_xcnt 0x0
	v_dual_mov_b32 v0, v8 :: v_dual_mov_b32 v1, v12
	v_mov_b32_e32 v12, v9
	s_clause 0x1
	scratch_store_b128 off, v[8:11], off offset:864
	scratch_store_b64 off, v[0:1], off offset:1192
	s_wait_xcnt 0x0
	v_dual_mov_b32 v0, v19 :: v_dual_mov_b32 v1, v23
	v_mov_b32_e32 v19, v22
	s_clause 0x1
	scratch_store_b128 off, v[12:15], off offset:880
	scratch_store_b64 off, v[0:1], off offset:1200
	;; [unrolled: 6-line block ×17, first 2 shown]
	scratch_store_b128 off, v[72:75], off offset:1120
	scratch_load_b128 v[0:3], off, off offset:544
	scratch_load_b128 v[6:9], off, off offset:576
	scratch_load_b128 v[10:13], off, off offset:592
	s_wait_loadcnt 0x1
	v_dual_mov_b32 v4, v0 :: v_dual_mov_b32 v5, v6
	v_mov_b32_e32 v6, v1
	s_delay_alu instid0(VALU_DEP_1)
	v_mov_b64_e32 v[0:1], v[6:7]
	scratch_store_b64 off, v[4:5], off offset:1344 ; 8-byte Folded Spill
	s_wait_xcnt 0x0
	v_dual_mov_b32 v4, v3 :: v_dual_mov_b32 v5, v9
	scratch_store_b128 off, v[0:3], off offset:1352 ; 16-byte Folded Spill
	s_wait_xcnt 0x0
	v_mov_b32_e32 v3, v8
	s_clause 0x2
	scratch_store_b64 off, v[4:5], off offset:1384
	scratch_store_b128 off, v[0:3], off offset:1328
	scratch_load_b128 v[2:5], off, off offset:624
	s_wait_loadcnt 0x0
	v_dual_mov_b32 v0, v10 :: v_dual_mov_b32 v1, v2
	v_mov_b32_e32 v2, v11
	scratch_store_b64 off, v[0:1], off offset:1392 ; 8-byte Folded Spill
	s_wait_xcnt 0x0
	v_dual_mov_b32 v0, v13 :: v_dual_mov_b32 v1, v5
	v_mov_b32_e32 v13, v4
	scratch_store_b64 off, v[0:1], off offset:1416 ; 8-byte Folded Spill
	s_wait_xcnt 0x0
	v_mov_b64_e32 v[0:1], v[2:3]
	s_clause 0x4
	scratch_store_b128 off, v[10:13], off offset:1368
	scratch_store_b128 off, v[0:3], off offset:1400
	scratch_load_b128 v[0:3], off, off offset:640
	scratch_load_b128 v[6:9], off, off offset:672
	scratch_load_b128 v[10:13], off, off offset:688
	s_wait_loadcnt 0x1
	v_dual_mov_b32 v4, v0 :: v_dual_mov_b32 v5, v6
	v_mov_b32_e32 v6, v1
	s_delay_alu instid0(VALU_DEP_1)
	v_mov_b64_e32 v[0:1], v[6:7]
	scratch_store_b64 off, v[4:5], off offset:1440 ; 8-byte Folded Spill
	s_wait_xcnt 0x0
	v_dual_mov_b32 v4, v3 :: v_dual_mov_b32 v5, v9
	scratch_store_b128 off, v[0:3], off offset:1448 ; 16-byte Folded Spill
	s_wait_xcnt 0x0
	v_mov_b32_e32 v3, v8
	s_clause 0x2
	scratch_store_b64 off, v[4:5], off offset:1480
	scratch_store_b128 off, v[0:3], off offset:1424
	scratch_load_b128 v[2:5], off, off offset:720
	s_wait_loadcnt 0x0
	v_dual_mov_b32 v0, v10 :: v_dual_mov_b32 v1, v2
	v_mov_b32_e32 v2, v11
	scratch_store_b64 off, v[0:1], off offset:1488 ; 8-byte Folded Spill
	s_wait_xcnt 0x0
	v_dual_mov_b32 v0, v13 :: v_dual_mov_b32 v1, v5
	v_mov_b32_e32 v13, v4
	scratch_store_b64 off, v[0:1], off offset:1512 ; 8-byte Folded Spill
	s_wait_xcnt 0x0
	v_mov_b64_e32 v[0:1], v[2:3]
	s_clause 0x4
	scratch_store_b128 off, v[10:13], off offset:1464
	;; [unrolled: 31-line block ×3, first 2 shown]
	scratch_store_b128 off, v[0:3], off offset:1592
	scratch_load_b128 v[0:3], off, off offset:80
	s_wait_loadcnt 0x0
	s_clause 0x1
	scratch_store_b128 off, v[0:3], off offset:1616
	scratch_load_b128 v[0:3], off, off offset:128
	s_wait_loadcnt 0x0
	s_clause 0x1
	;; [unrolled: 4-line block ×6, first 2 shown]
	scratch_store_b128 off, v[0:3], off offset:1696
	scratch_load_b128 v[124:127], off, off offset:368
	scratch_load_b128 v[36:39], off, off offset:416
	scratch_load_b128 v[52:55], off, off offset:512
	scratch_load_b128 v[0:3], off, off offset:560
	scratch_load_b128 v[10:13], off, off offset:608
	scratch_load_b128 v[18:21], off, off offset:656
	scratch_load_b128 v[26:29], off, off offset:704
	scratch_load_b128 v[42:45], off, off offset:752
	scratch_load_b128 v[48:51], off, off offset:800
	scratch_load_b128 v[30:33], off, off
	scratch_load_b128 v[22:25], off, off offset:16
	scratch_load_b128 v[14:17], off, off offset:32
	;; [unrolled: 1-line block ×3, first 2 shown]
.LBB4_27:                               ; =>This Loop Header: Depth=1
                                        ;     Child Loop BB4_28 Depth 2
	v_mov_b32_e32 v4, s13
	s_mov_b32 s25, s17
	s_mov_b64 s[14:15], s[8:9]
	global_load_b128 v[58:61], v4, s[10:11] scale_offset
	s_clause 0x4
	scratch_load_b128 v[70:73], off, off offset:1616
	scratch_load_b64 v[4:5], off, off offset:1280
	scratch_load_b64 v[34:35], off, off offset:1288
	scratch_load_b128 v[62:65], off, off offset:1072
	scratch_load_b128 v[76:79], off, off offset:1632
	s_wait_loadcnt 0x4
	v_dual_fma_f32 v97, v58, v52, v55 :: v_dual_fma_f32 v91, v58, v70, v73
	s_wait_loadcnt 0x2
	v_pk_fma_f32 v[4:5], v[58:59], v[34:35], v[4:5] op_sel_hi:[0,1,1]
	s_clause 0x2
	scratch_load_b64 v[34:35], off, off offset:1264
	scratch_load_b64 v[40:41], off, off offset:1272
	scratch_load_b128 v[84:87], off, off offset:1648
	v_fma_f32 v82, v58, v124, v127
	v_fma_f32 v83, v58, v36, v39
	s_wait_loadcnt 0x4
	v_pk_fma_f32 v[4:5], v[58:59], v[62:63], v[4:5] op_sel:[1,0,0]
	scratch_load_b128 v[62:65], off, off offset:1040 ; 16-byte Folded Reload
	v_dual_fma_f32 v99, v58, v10, v13 :: v_dual_fmac_f32 v82, v59, v125
	v_dual_fmac_f32 v83, v59, v37 :: v_dual_fma_f32 v104, v58, v18, v21
	s_delay_alu instid0(VALU_DEP_2) | instskip(SKIP_1) | instid1(VALU_DEP_3)
	v_dual_fma_f32 v105, v58, v26, v29 :: v_dual_fmac_f32 v99, v59, v11
	v_dual_fma_f32 v107, v58, v48, v51 :: v_dual_fma_f32 v106, v58, v42, v45
	v_fmac_f32_e32 v104, v59, v19
	s_delay_alu instid0(VALU_DEP_3) | instskip(SKIP_2) | instid1(VALU_DEP_4)
	v_dual_fmac_f32 v105, v59, v27 :: v_dual_fmac_f32 v82, v60, v126
	v_fmac_f32_e32 v83, v60, v38
	v_fmac_f32_e32 v99, v60, v12
	v_dual_fmac_f32 v104, v60, v20 :: v_dual_fmac_f32 v107, v59, v49
	s_delay_alu instid0(VALU_DEP_4) | instskip(SKIP_1) | instid1(VALU_DEP_3)
	v_fmac_f32_e32 v105, v60, v28
	v_dual_fmac_f32 v97, v59, v53 :: v_dual_fma_f32 v98, v58, v0, v3
	v_fmac_f32_e32 v107, v60, v50
	s_delay_alu instid0(VALU_DEP_2) | instskip(NEXT) | instid1(VALU_DEP_1)
	v_dual_fmac_f32 v97, v60, v54 :: v_dual_fmac_f32 v98, v59, v1
	v_fmac_f32_e32 v98, v60, v2
	s_wait_loadcnt 0x2
	v_pk_fma_f32 v[34:35], v[58:59], v[40:41], v[34:35] op_sel_hi:[0,1,1]
	s_clause 0x2
	scratch_load_b64 v[40:41], off, off offset:1248
	scratch_load_b64 v[46:47], off, off offset:1256
	scratch_load_b128 v[110:113], off, off offset:1664
	s_wait_loadcnt 0x4
	v_fma_f32 v100, v58, v84, v87
	s_wait_loadcnt 0x3
	v_pk_fma_f32 v[34:35], v[58:59], v[62:63], v[34:35] op_sel:[1,0,0]
	scratch_load_b128 v[62:65], off, off offset:1008 ; 16-byte Folded Reload
	s_wait_loadcnt 0x2
	v_pk_fma_f32 v[40:41], v[58:59], v[46:47], v[40:41] op_sel_hi:[0,1,1]
	s_clause 0x2
	scratch_load_b64 v[46:47], off, off offset:1232
	scratch_load_b64 v[56:57], off, off offset:1240
	scratch_load_b128 v[120:123], off, off offset:1680
	s_wait_loadcnt 0x4
	v_dual_fma_f32 v101, v58, v110, v113 :: v_dual_fma_f32 v73, v58, v76, v79
	v_fmac_f32_e32 v100, v59, v85
	s_wait_loadcnt 0x3
	v_pk_fma_f32 v[40:41], v[58:59], v[62:63], v[40:41] op_sel:[1,0,0]
	scratch_load_b128 v[62:65], off, off offset:976 ; 16-byte Folded Reload
	v_fmac_f32_e32 v101, v59, v111
	v_dual_fmac_f32 v91, v59, v71 :: v_dual_fmac_f32 v73, v59, v77
	s_delay_alu instid0(VALU_DEP_1) | instskip(NEXT) | instid1(VALU_DEP_1)
	v_dual_fmac_f32 v106, v59, v43 :: v_dual_fmac_f32 v91, v60, v72
	v_dual_fmac_f32 v73, v60, v78 :: v_dual_fmac_f32 v106, v60, v44
	s_wait_loadcnt 0x2
	v_pk_fma_f32 v[46:47], v[58:59], v[56:57], v[46:47] op_sel_hi:[0,1,1]
	s_wait_loadcnt 0x1
	v_dual_fma_f32 v80, v58, v120, v123 :: v_dual_fmac_f32 v100, v60, v86
	v_fmac_f32_e32 v101, v60, v112
	s_wait_loadcnt 0x0
	v_pk_fma_f32 v[46:47], v[58:59], v[62:63], v[46:47] op_sel:[1,0,0]
	s_clause 0x1
	scratch_load_b64 v[56:57], off, off offset:1216
	scratch_load_b64 v[62:63], off, off offset:1224
	v_fmac_f32_e32 v80, v59, v121
	scratch_load_b128 v[118:121], off, off offset:1696 ; 16-byte Folded Reload
	s_wait_loadcnt 0x1
	v_pk_fma_f32 v[56:57], v[58:59], v[62:63], v[56:57] op_sel_hi:[0,1,1]
	scratch_load_b128 v[62:65], off, off offset:944 ; 16-byte Folded Reload
	s_wait_loadcnt 0x1
	v_fma_f32 v81, v58, v118, v121
	s_delay_alu instid0(VALU_DEP_1) | instskip(NEXT) | instid1(VALU_DEP_1)
	v_dual_fmac_f32 v81, v59, v119 :: v_dual_fmac_f32 v80, v60, v122
	v_fmac_f32_e32 v81, v60, v120
	s_wait_loadcnt 0x0
	v_pk_fma_f32 v[56:57], v[58:59], v[62:63], v[56:57] op_sel:[1,0,0]
	s_clause 0x1
	scratch_load_b64 v[62:63], off, off offset:1200
	scratch_load_b64 v[64:65], off, off offset:1208
	s_wait_loadcnt 0x0
	v_pk_fma_f32 v[62:63], v[58:59], v[64:65], v[62:63] op_sel_hi:[0,1,1]
	scratch_load_b128 v[64:67], off, off offset:912 ; 16-byte Folded Reload
	s_wait_loadcnt 0x0
	v_pk_fma_f32 v[62:63], v[58:59], v[64:65], v[62:63] op_sel:[1,0,0]
	s_clause 0x1
	scratch_load_b64 v[64:65], off, off offset:1184
	scratch_load_b64 v[66:67], off, off offset:1192
	s_wait_loadcnt 0x0
	v_pk_fma_f32 v[64:65], v[58:59], v[66:67], v[64:65] op_sel_hi:[0,1,1]
	scratch_load_b128 v[66:69], off, off offset:880 ; 16-byte Folded Reload
	s_wait_loadcnt 0x0
	v_pk_fma_f32 v[64:65], v[58:59], v[66:67], v[64:65] op_sel:[1,0,0]
	s_clause 0x2
	scratch_load_b64 v[66:67], off, off offset:1168
	scratch_load_b64 v[68:69], off, off offset:1176
	scratch_load_b128 v[116:119], off, off offset:1152
	s_wait_loadcnt 0x1
	v_pk_fma_f32 v[66:67], v[58:59], v[68:69], v[66:67] op_sel_hi:[0,1,1]
	scratch_load_b128 v[68:71], off, off offset:848 ; 16-byte Folded Reload
	s_wait_loadcnt 0x1
	v_fma_f32 v96, v58, v116, v119
	s_delay_alu instid0(VALU_DEP_1) | instskip(NEXT) | instid1(VALU_DEP_1)
	v_fmac_f32_e32 v96, v59, v117
	v_fmac_f32_e32 v96, v60, v118
	s_wait_loadcnt 0x0
	v_pk_fma_f32 v[66:67], v[58:59], v[68:69], v[66:67] op_sel:[1,0,0]
	s_clause 0x2
	scratch_load_b64 v[68:69], off, off offset:1296
	scratch_load_b64 v[70:71], off, off offset:1304
	scratch_load_b128 v[74:77], off, off offset:1104
	s_wait_loadcnt 0x1
	v_pk_fma_f32 v[68:69], v[58:59], v[68:69], v[70:71] op_sel_hi:[0,1,1]
	s_wait_loadcnt 0x0
	s_delay_alu instid0(VALU_DEP_1)
	v_pk_fma_f32 v[84:85], v[58:59], v[74:75], v[68:69] op_sel:[1,0,0]
	s_clause 0x2
	scratch_load_b64 v[68:69], off, off offset:1312
	scratch_load_b64 v[70:71], off, off offset:1320
	scratch_load_b128 v[74:77], off, off offset:1136
	s_wait_loadcnt 0x1
	v_pk_fma_f32 v[68:69], v[58:59], v[68:69], v[70:71] op_sel_hi:[0,1,1]
	s_wait_loadcnt 0x0
	s_delay_alu instid0(VALU_DEP_1)
	;; [unrolled: 9-line block ×7, first 2 shown]
	v_pk_fma_f32 v[110:111], v[58:59], v[74:75], v[68:69] op_sel:[1,0,0]
	s_clause 0x3
	scratch_load_b64 v[68:69], off, off offset:1584
	scratch_load_b64 v[70:71], off, off offset:1608
	scratch_load_b128 v[74:77], off, off offset:1592
	scratch_load_b128 v[112:115], off, off offset:960
	s_wait_loadcnt 0x2
	v_pk_fma_f32 v[68:69], v[58:59], v[68:69], v[70:71] op_sel_hi:[0,1,1]
	s_wait_loadcnt 0x1
	s_delay_alu instid0(VALU_DEP_1)
	v_pk_fma_f32 v[58:59], v[58:59], v[74:75], v[68:69] op_sel:[1,0,0]
	s_clause 0x1
	scratch_load_b128 v[74:77], off, off offset:1024
	scratch_load_b128 v[68:71], off, off offset:1056
	s_wait_loadcnt 0x1
	v_pk_fma_f32 v[78:79], v[60:61], v[76:77], v[34:35] op_sel_hi:[0,1,1]
	v_pk_fma_f32 v[34:35], v[60:61], v[114:115], v[46:47] op_sel_hi:[0,1,1]
	scratch_load_b128 v[112:115], off, off offset:928 ; 16-byte Folded Reload
	s_wait_loadcnt 0x1
	v_pk_fma_f32 v[68:69], v[60:61], v[70:71], v[4:5] op_sel_hi:[0,1,1]
	scratch_load_b128 v[74:77], off, off offset:992 ; 16-byte Folded Reload
	s_wait_loadcnt 0x1
	;; [unrolled: 3-line block ×4, first 2 shown]
	v_pk_fma_f32 v[86:87], v[60:61], v[114:115], v[64:65] op_sel_hi:[0,1,1]
	scratch_load_b128 v[62:65], off, off offset:832 ; 16-byte Folded Reload
	v_pk_fma_f32 v[76:77], v[60:61], v[76:77], v[40:41] op_sel_hi:[0,1,1]
	s_wait_loadcnt 0x0
	v_pk_fma_f32 v[74:75], v[60:61], v[64:65], v[66:67] op_sel_hi:[0,1,1]
	scratch_load_b128 v[62:65], off, off offset:1088 ; 16-byte Folded Reload
	s_wait_loadcnt 0x0
	v_pk_fma_f32 v[46:47], v[60:61], v[64:65], v[84:85] op_sel_hi:[0,1,1]
	scratch_load_b128 v[62:65], off, off offset:1120 ; 16-byte Folded Reload
	;; [unrolled: 3-line block ×8, first 2 shown]
	s_wait_loadcnt 0x0
	v_pk_fma_f32 v[56:57], v[60:61], v[66:67], v[58:59] op_sel_hi:[0,1,1]
	global_load_b128 v[58:61], v61, s[6:7] scale_offset
	s_wait_loadcnt 0x0
	v_readfirstlane_b32 s20, v60
	v_readfirstlane_b32 s0, v58
	s_cmp_gt_f32 s20, 0
	s_cselect_b32 s21, -1, 0
	s_cmp_eq_u32 s0, 0x46
	s_cselect_b32 s22, -1, 0
	s_cmp_eq_u32 s0, 0x45
	s_cselect_b32 s23, -1, 0
	s_cmp_lt_f32 s20, 0
	s_cselect_b32 s24, -1, 0
	s_delay_alu instid0(SALU_CYCLE_1)
	s_and_b32 s0, s24, exec_lo
	s_cselect_b32 s27, 0x40b00000, 1.0
	s_cselect_b32 s28, 1.0, 0xff7fffff
	s_xor_b32 s29, s20, 0x80000000
.LBB4_28:                               ;   Parent Loop BB4_27 Depth=1
                                        ; =>  This Inner Loop Header: Depth=2
	v_mov_b32_e32 v58, 0
	global_load_b128 v[64:67], v58, s[14:15] offset:-8
	s_wait_xcnt 0x0
	s_add_nc_u64 s[14:15], s[14:15], 16
	s_wait_loadcnt 0x0
	global_load_b128 v[108:111], v67, s[6:7] scale_offset
	s_wait_loadcnt 0x0
	v_add_f32_e32 v90, v59, v109
	v_readfirstlane_b32 s0, v108
	v_readfirstlane_b32 s1, v110
	v_sub_f32_e32 v108, v91, v65
	s_delay_alu instid0(VALU_DEP_4)
	v_div_scale_f32 v58, null, v90, v90, 1.0
	s_cmp_eq_u32 s0, 0x46
	s_cselect_b32 s3, -1, 0
	v_xor_b32_e32 v60, 0x80000000, v58
	v_rcp_f32_e32 v58, v58
	s_and_b32 s3, s3, s22
	s_delay_alu instid0(SALU_CYCLE_1)
	s_and_b32 s3, s3, exec_lo
	s_cselect_b32 s34, 4.0, 2.0
	s_cselect_b32 s18, 0x3e800000, 0.5
	s_cmp_eq_u32 s0, 0x45
	s_wait_xcnt 0x0
	v_nop
	v_fma_f32 v67, v60, v58, 1.0
	s_cselect_b32 s0, -1, 0
	s_delay_alu instid0(SALU_CYCLE_1) | instskip(SKIP_1) | instid1(VALU_DEP_1)
	s_or_b32 s33, s0, s23
	s_cmp_gt_f32 s1, 0
	v_fmac_f32_e32 v58, v67, v58
	v_div_scale_f32 v67, vcc_lo, 1.0, v90, 1.0
	s_cselect_b32 s0, -1, 0
	s_cmp_neq_f32 s1, 0
	v_mul_f32_e32 v72, v67, v58
	s_cselect_b32 s30, -1, 0
	s_cmp_lt_f32 s1, 0
	s_delay_alu instid0(VALU_DEP_1) | instskip(SKIP_1) | instid1(SALU_CYCLE_1)
	v_fma_f32 v88, v60, v72, v67
	s_cselect_b32 s3, -1, 0
	s_and_b32 s16, s3, exec_lo
	s_delay_alu instid0(VALU_DEP_1)
	v_fmac_f32_e32 v72, v88, v58
	s_cselect_b32 s31, s27, s28
	s_and_b32 s3, s3, s21
	s_xor_b32 s16, s1, 0x80000000
	s_and_b32 s3, s3, exec_lo
	v_fmac_f32_e32 v67, v60, v72
	s_cselect_b32 s1, s16, s1
	s_and_b32 s0, s0, s24
	s_delay_alu instid0(SALU_CYCLE_1) | instskip(NEXT) | instid1(VALU_DEP_1)
	s_and_b32 s0, s0, exec_lo
	v_div_fmas_f32 v58, v67, v58, v72
	s_cselect_b32 s0, s29, s20
	s_add_co_i32 s25, s25, -1
	s_add_f32 s16, s1, s0
	s_delay_alu instid0(VALU_DEP_1) | instskip(SKIP_1) | instid1(VALU_DEP_1)
	v_div_fixup_f32 v72, v58, v90, 1.0
	v_div_scale_f32 v58, null, s31, s31, 1.0
	v_xor_b32_e32 v60, 0x80000000, v58
	v_rcp_f32_e32 v58, v58
	v_nop
	s_delay_alu instid0(TRANS32_DEP_1) | instskip(NEXT) | instid1(VALU_DEP_1)
	v_fma_f32 v67, v60, v58, 1.0
	v_fmac_f32_e32 v58, v67, v58
	v_div_scale_f32 v67, vcc_lo, 1.0, s31, 1.0
	s_delay_alu instid0(VALU_DEP_1) | instskip(NEXT) | instid1(VALU_DEP_1)
	v_mul_f32_e32 v88, v67, v58
	v_fma_f32 v89, v60, v88, v67
	s_delay_alu instid0(VALU_DEP_1) | instskip(NEXT) | instid1(VALU_DEP_1)
	v_dual_fmac_f32 v88, v89, v58 :: v_dual_mov_b32 v89, v66
	v_dual_fmac_f32 v67, v60, v88 :: v_dual_mul_f32 v60, v61, v111
	s_delay_alu instid0(VALU_DEP_1) | instskip(SKIP_1) | instid1(VALU_DEP_2)
	v_div_fmas_f32 v58, v67, v58, v88
	v_mov_b32_e32 v88, v64
	v_div_fixup_f32 v58, v58, s31, 1.0
	s_delay_alu instid0(VALU_DEP_2) | instskip(NEXT) | instid1(VALU_DEP_1)
	v_pk_add_f32 v[66:67], v[68:69], v[88:89] neg_lo:[0,1] neg_hi:[0,1]
	v_pk_mul_f32 v[66:67], v[66:67], v[66:67]
	s_delay_alu instid0(VALU_DEP_1) | instskip(NEXT) | instid1(VALU_DEP_1)
	v_fma_f32 v64, v108, v108, v66
	v_add_f32_e32 v64, v64, v67
	s_delay_alu instid0(VALU_DEP_1) | instskip(SKIP_1) | instid1(VALU_DEP_1)
	v_cmp_gt_f32_e32 vcc_lo, 0xf800000, v64
	v_mul_f32_e32 v66, 0x4f800000, v64
	v_cndmask_b32_e32 v64, v64, v66, vcc_lo
	s_delay_alu instid0(VALU_DEP_1) | instskip(SKIP_1) | instid1(TRANS32_DEP_1)
	v_sqrt_f32_e32 v66, v64
	v_nop
	v_add_nc_u32_e32 v67, -1, v66
	s_delay_alu instid0(VALU_DEP_1) | instskip(NEXT) | instid1(VALU_DEP_1)
	v_fma_f32 v108, -v67, v66, v64
	v_cmp_ge_f32_e64 s0, 0, v108
	s_delay_alu instid0(VALU_DEP_1) | instskip(NEXT) | instid1(VALU_DEP_1)
	v_dual_add_nc_u32 v108, 1, v66 :: v_dual_cndmask_b32 v67, v66, v67, s0
	v_fma_f32 v66, -v108, v66, v64
	s_delay_alu instid0(VALU_DEP_1) | instskip(NEXT) | instid1(VALU_DEP_1)
	v_cmp_lt_f32_e64 s0, 0, v66
	v_cndmask_b32_e64 v66, v67, v108, s0
	v_pk_add_f32 v[108:109], v[78:79], v[88:89] neg_lo:[0,1] neg_hi:[0,1]
	s_delay_alu instid0(VALU_DEP_2) | instskip(NEXT) | instid1(VALU_DEP_2)
	v_mul_f32_e32 v67, 0x37800000, v66
	v_pk_mul_f32 v[108:109], v[108:109], v[108:109]
	s_delay_alu instid0(VALU_DEP_2) | instskip(SKIP_1) | instid1(VALU_DEP_1)
	v_cndmask_b32_e32 v66, v66, v67, vcc_lo
	v_cmp_class_f32_e64 vcc_lo, v64, 0x260
	v_dual_cndmask_b32 v66, v66, v64, vcc_lo :: v_dual_sub_f32 v64, v73, v65
	s_delay_alu instid0(VALU_DEP_1) | instskip(NEXT) | instid1(VALU_DEP_1)
	v_fma_f32 v64, v64, v64, v108
	v_add_f32_e32 v64, v64, v109
	s_delay_alu instid0(VALU_DEP_1) | instskip(SKIP_1) | instid1(VALU_DEP_1)
	v_cmp_gt_f32_e32 vcc_lo, 0xf800000, v64
	v_mul_f32_e32 v67, 0x4f800000, v64
	v_cndmask_b32_e32 v64, v64, v67, vcc_lo
	s_delay_alu instid0(VALU_DEP_1) | instskip(SKIP_1) | instid1(TRANS32_DEP_1)
	v_sqrt_f32_e32 v67, v64
	v_nop
	v_add_nc_u32_e32 v108, -1, v67
	s_delay_alu instid0(VALU_DEP_1) | instskip(NEXT) | instid1(VALU_DEP_1)
	v_fma_f32 v109, -v108, v67, v64
	v_cmp_ge_f32_e64 s0, 0, v109
	s_delay_alu instid0(VALU_DEP_1) | instskip(NEXT) | instid1(VALU_DEP_1)
	v_dual_add_nc_u32 v109, 1, v67 :: v_dual_cndmask_b32 v108, v67, v108, s0
	v_fma_f32 v67, -v109, v67, v64
	s_delay_alu instid0(VALU_DEP_1) | instskip(NEXT) | instid1(VALU_DEP_1)
	v_cmp_lt_f32_e64 s0, 0, v67
	v_cndmask_b32_e64 v67, v108, v109, s0
	s_delay_alu instid0(VALU_DEP_1) | instskip(NEXT) | instid1(VALU_DEP_1)
	v_mul_f32_e32 v108, 0x37800000, v67
	v_cndmask_b32_e32 v67, v67, v108, vcc_lo
	v_cmp_class_f32_e64 vcc_lo, v64, 0x260
	s_delay_alu instid0(VALU_DEP_2) | instskip(NEXT) | instid1(VALU_DEP_1)
	v_dual_cndmask_b32 v67, v67, v64 :: v_dual_sub_f32 v64, v100, v65
	v_pk_add_f32 v[108:109], v[66:67], v[90:91] op_sel_hi:[1,0] neg_lo:[0,1] neg_hi:[0,1]
	v_pk_fma_f32 v[66:67], v[72:73], v[66:67], 1.0 op_sel_hi:[0,1,0] neg_lo:[1,0,0] neg_hi:[1,0,0]
	s_delay_alu instid0(VALU_DEP_2) | instskip(NEXT) | instid1(VALU_DEP_3)
	v_cmp_gt_f32_e32 vcc_lo, 0, v108
	v_cmp_gt_f32_e64 s0, 0, v109
	v_cmp_gt_f32_e64 s1, s34, v108
	;; [unrolled: 1-line block ×3, first 2 shown]
	v_cndmask_b32_e64 v110, 0, 0x42980000, vcc_lo
	s_delay_alu instid0(VALU_DEP_4) | instskip(NEXT) | instid1(VALU_DEP_1)
	v_cndmask_b32_e64 v111, 0, 0x42980000, s0
	v_pk_fma_f32 v[30:31], v[66:67], v[110:111], v[30:31]
	v_pk_fma_f32 v[66:67], s[18:19], v[108:109], 1.0 op_sel_hi:[0,1,0] neg_lo:[1,0,0] neg_hi:[1,0,0]
	v_cndmask_b32_e64 v111, 0, 1.0, s3
	v_cndmask_b32_e64 v110, 0, 1.0, s1
	v_cmp_gt_f32_e64 s1, s31, v109
	v_cmp_gt_f32_e64 s3, s31, v108
	v_cndmask_b32_e64 v67, v67, 1.0, s0
	v_cndmask_b32_e64 v66, v66, 1.0, vcc_lo
	s_and_b32 s1, s30, s1
	s_and_b32 s3, s30, s3
	s_delay_alu instid0(VALU_DEP_1) | instskip(NEXT) | instid1(VALU_DEP_1)
	v_pk_mul_f32 v[66:67], v[110:111], v[66:67]
	v_pk_mul_f32 v[66:67], v[60:61], v[66:67] op_sel_hi:[0,1]
	s_delay_alu instid0(VALU_DEP_1) | instskip(NEXT) | instid1(VALU_DEP_2)
	v_cndmask_b32_e64 v67, v67, -|v67|, s33
	v_cndmask_b32_e64 v66, v66, -|v66|, s33
	s_delay_alu instid0(VALU_DEP_1) | instskip(SKIP_3) | instid1(VALU_DEP_3)
	v_pk_fma_f32 v[30:31], v[66:67], s[12:13], v[30:31] op_sel_hi:[1,0,1]
	v_pk_fma_f32 v[66:67], v[58:59], v[108:109], 1.0 op_sel_hi:[0,1,0] neg_lo:[1,0,0] neg_hi:[1,0,0]
	v_cndmask_b32_e64 v109, 0, 1.0, s1
	v_cndmask_b32_e64 v108, 0, 1.0, s3
	;; [unrolled: 1-line block ×3, first 2 shown]
	s_delay_alu instid0(VALU_DEP_4) | instskip(NEXT) | instid1(VALU_DEP_3)
	v_cndmask_b32_e64 v66, v66, 1.0, vcc_lo
	v_pk_mul_f32 v[108:109], s[16:17], v[108:109] op_sel_hi:[0,1]
	s_delay_alu instid0(VALU_DEP_1) | instskip(SKIP_1) | instid1(VALU_DEP_1)
	v_pk_fma_f32 v[30:31], v[66:67], v[108:109], v[30:31]
	v_pk_add_f32 v[66:67], v[76:77], v[88:89] neg_lo:[0,1] neg_hi:[0,1]
	v_pk_mul_f32 v[66:67], v[66:67], v[66:67]
	s_delay_alu instid0(VALU_DEP_1) | instskip(NEXT) | instid1(VALU_DEP_1)
	v_fma_f32 v64, v64, v64, v66
	v_add_f32_e32 v64, v64, v67
	s_delay_alu instid0(VALU_DEP_1) | instskip(SKIP_1) | instid1(VALU_DEP_1)
	v_cmp_gt_f32_e32 vcc_lo, 0xf800000, v64
	v_mul_f32_e32 v66, 0x4f800000, v64
	v_cndmask_b32_e32 v64, v64, v66, vcc_lo
	s_delay_alu instid0(VALU_DEP_1) | instskip(SKIP_1) | instid1(TRANS32_DEP_1)
	v_sqrt_f32_e32 v66, v64
	v_nop
	v_add_nc_u32_e32 v67, -1, v66
	s_delay_alu instid0(VALU_DEP_1) | instskip(NEXT) | instid1(VALU_DEP_1)
	v_fma_f32 v108, -v67, v66, v64
	v_cmp_ge_f32_e64 s0, 0, v108
	s_delay_alu instid0(VALU_DEP_1) | instskip(NEXT) | instid1(VALU_DEP_1)
	v_dual_add_nc_u32 v108, 1, v66 :: v_dual_cndmask_b32 v67, v66, v67, s0
	v_fma_f32 v66, -v108, v66, v64
	s_delay_alu instid0(VALU_DEP_1) | instskip(NEXT) | instid1(VALU_DEP_1)
	v_cmp_lt_f32_e64 s0, 0, v66
	v_cndmask_b32_e64 v66, v67, v108, s0
	v_pk_add_f32 v[108:109], v[34:35], v[88:89] neg_lo:[0,1] neg_hi:[0,1]
	s_delay_alu instid0(VALU_DEP_2) | instskip(NEXT) | instid1(VALU_DEP_2)
	v_mul_f32_e32 v67, 0x37800000, v66
	v_pk_mul_f32 v[108:109], v[108:109], v[108:109]
	s_delay_alu instid0(VALU_DEP_2) | instskip(SKIP_1) | instid1(VALU_DEP_1)
	v_cndmask_b32_e32 v66, v66, v67, vcc_lo
	v_cmp_class_f32_e64 vcc_lo, v64, 0x260
	v_dual_cndmask_b32 v66, v66, v64, vcc_lo :: v_dual_sub_f32 v64, v101, v65
	s_delay_alu instid0(VALU_DEP_1) | instskip(NEXT) | instid1(VALU_DEP_1)
	v_fma_f32 v64, v64, v64, v108
	v_add_f32_e32 v64, v64, v109
	s_delay_alu instid0(VALU_DEP_1) | instskip(SKIP_1) | instid1(VALU_DEP_1)
	v_cmp_gt_f32_e32 vcc_lo, 0xf800000, v64
	v_mul_f32_e32 v67, 0x4f800000, v64
	v_cndmask_b32_e32 v64, v64, v67, vcc_lo
	s_delay_alu instid0(VALU_DEP_1) | instskip(SKIP_1) | instid1(TRANS32_DEP_1)
	v_sqrt_f32_e32 v67, v64
	v_nop
	v_add_nc_u32_e32 v108, -1, v67
	s_delay_alu instid0(VALU_DEP_1) | instskip(NEXT) | instid1(VALU_DEP_1)
	v_fma_f32 v109, -v108, v67, v64
	v_cmp_ge_f32_e64 s0, 0, v109
	s_delay_alu instid0(VALU_DEP_1) | instskip(NEXT) | instid1(VALU_DEP_1)
	v_dual_add_nc_u32 v109, 1, v67 :: v_dual_cndmask_b32 v108, v67, v108, s0
	v_fma_f32 v67, -v109, v67, v64
	s_delay_alu instid0(VALU_DEP_1) | instskip(NEXT) | instid1(VALU_DEP_1)
	v_cmp_lt_f32_e64 s0, 0, v67
	v_cndmask_b32_e64 v67, v108, v109, s0
	s_delay_alu instid0(VALU_DEP_1) | instskip(NEXT) | instid1(VALU_DEP_1)
	v_mul_f32_e32 v108, 0x37800000, v67
	v_cndmask_b32_e32 v67, v67, v108, vcc_lo
	v_cmp_class_f32_e64 vcc_lo, v64, 0x260
	s_delay_alu instid0(VALU_DEP_2) | instskip(NEXT) | instid1(VALU_DEP_1)
	v_dual_cndmask_b32 v67, v67, v64 :: v_dual_sub_f32 v64, v80, v65
	v_pk_add_f32 v[108:109], v[66:67], v[90:91] op_sel_hi:[1,0] neg_lo:[0,1] neg_hi:[0,1]
	v_pk_fma_f32 v[66:67], v[72:73], v[66:67], 1.0 op_sel_hi:[0,1,0] neg_lo:[1,0,0] neg_hi:[1,0,0]
	s_delay_alu instid0(VALU_DEP_2) | instskip(NEXT) | instid1(VALU_DEP_3)
	v_cmp_gt_f32_e32 vcc_lo, 0, v108
	v_cmp_gt_f32_e64 s0, 0, v109
	v_cmp_gt_f32_e64 s1, s34, v108
	;; [unrolled: 1-line block ×3, first 2 shown]
	v_cndmask_b32_e64 v110, 0, 0x42980000, vcc_lo
	s_delay_alu instid0(VALU_DEP_4) | instskip(NEXT) | instid1(VALU_DEP_1)
	v_cndmask_b32_e64 v111, 0, 0x42980000, s0
	v_pk_fma_f32 v[32:33], v[66:67], v[110:111], v[32:33]
	v_pk_fma_f32 v[66:67], s[18:19], v[108:109], 1.0 op_sel_hi:[0,1,0] neg_lo:[1,0,0] neg_hi:[1,0,0]
	v_cndmask_b32_e64 v111, 0, 1.0, s3
	v_cndmask_b32_e64 v110, 0, 1.0, s1
	v_cmp_gt_f32_e64 s1, s31, v109
	v_cmp_gt_f32_e64 s3, s31, v108
	v_cndmask_b32_e64 v67, v67, 1.0, s0
	v_cndmask_b32_e64 v66, v66, 1.0, vcc_lo
	s_and_b32 s1, s30, s1
	s_and_b32 s3, s30, s3
	s_delay_alu instid0(VALU_DEP_1) | instskip(NEXT) | instid1(VALU_DEP_1)
	v_pk_mul_f32 v[66:67], v[110:111], v[66:67]
	v_pk_mul_f32 v[66:67], v[60:61], v[66:67] op_sel_hi:[0,1]
	s_delay_alu instid0(VALU_DEP_1) | instskip(NEXT) | instid1(VALU_DEP_2)
	v_cndmask_b32_e64 v67, v67, -|v67|, s33
	v_cndmask_b32_e64 v66, v66, -|v66|, s33
	s_delay_alu instid0(VALU_DEP_1) | instskip(SKIP_3) | instid1(VALU_DEP_3)
	v_pk_fma_f32 v[32:33], v[66:67], s[12:13], v[32:33] op_sel_hi:[1,0,1]
	v_pk_fma_f32 v[66:67], v[58:59], v[108:109], 1.0 op_sel_hi:[0,1,0] neg_lo:[1,0,0] neg_hi:[1,0,0]
	v_cndmask_b32_e64 v109, 0, 1.0, s1
	v_cndmask_b32_e64 v108, 0, 1.0, s3
	;; [unrolled: 1-line block ×3, first 2 shown]
	s_delay_alu instid0(VALU_DEP_4) | instskip(NEXT) | instid1(VALU_DEP_3)
	v_cndmask_b32_e64 v66, v66, 1.0, vcc_lo
	v_pk_mul_f32 v[108:109], s[16:17], v[108:109] op_sel_hi:[0,1]
	s_delay_alu instid0(VALU_DEP_1) | instskip(SKIP_1) | instid1(VALU_DEP_1)
	v_pk_fma_f32 v[32:33], v[66:67], v[108:109], v[32:33]
	v_pk_add_f32 v[66:67], v[70:71], v[88:89] neg_lo:[0,1] neg_hi:[0,1]
	v_pk_mul_f32 v[66:67], v[66:67], v[66:67]
	s_delay_alu instid0(VALU_DEP_1) | instskip(NEXT) | instid1(VALU_DEP_1)
	v_fma_f32 v64, v64, v64, v66
	v_add_f32_e32 v64, v64, v67
	s_delay_alu instid0(VALU_DEP_1) | instskip(SKIP_1) | instid1(VALU_DEP_1)
	v_cmp_gt_f32_e32 vcc_lo, 0xf800000, v64
	v_mul_f32_e32 v66, 0x4f800000, v64
	v_cndmask_b32_e32 v64, v64, v66, vcc_lo
	s_delay_alu instid0(VALU_DEP_1) | instskip(SKIP_1) | instid1(TRANS32_DEP_1)
	v_sqrt_f32_e32 v66, v64
	v_nop
	v_add_nc_u32_e32 v67, -1, v66
	s_delay_alu instid0(VALU_DEP_1) | instskip(NEXT) | instid1(VALU_DEP_1)
	v_fma_f32 v108, -v67, v66, v64
	v_cmp_ge_f32_e64 s0, 0, v108
	s_delay_alu instid0(VALU_DEP_1) | instskip(NEXT) | instid1(VALU_DEP_1)
	v_dual_add_nc_u32 v108, 1, v66 :: v_dual_cndmask_b32 v67, v66, v67, s0
	v_fma_f32 v66, -v108, v66, v64
	s_delay_alu instid0(VALU_DEP_1) | instskip(NEXT) | instid1(VALU_DEP_1)
	v_cmp_lt_f32_e64 s0, 0, v66
	v_cndmask_b32_e64 v66, v67, v108, s0
	v_pk_add_f32 v[108:109], v[4:5], v[88:89] neg_lo:[0,1] neg_hi:[0,1]
	s_delay_alu instid0(VALU_DEP_2) | instskip(NEXT) | instid1(VALU_DEP_2)
	v_mul_f32_e32 v67, 0x37800000, v66
	v_pk_mul_f32 v[108:109], v[108:109], v[108:109]
	s_delay_alu instid0(VALU_DEP_2) | instskip(SKIP_1) | instid1(VALU_DEP_1)
	v_cndmask_b32_e32 v66, v66, v67, vcc_lo
	v_cmp_class_f32_e64 vcc_lo, v64, 0x260
	v_dual_cndmask_b32 v66, v66, v64, vcc_lo :: v_dual_sub_f32 v64, v81, v65
	s_delay_alu instid0(VALU_DEP_1) | instskip(NEXT) | instid1(VALU_DEP_1)
	v_fma_f32 v64, v64, v64, v108
	v_add_f32_e32 v64, v64, v109
	s_delay_alu instid0(VALU_DEP_1) | instskip(SKIP_1) | instid1(VALU_DEP_1)
	v_cmp_gt_f32_e32 vcc_lo, 0xf800000, v64
	v_mul_f32_e32 v67, 0x4f800000, v64
	v_cndmask_b32_e32 v64, v64, v67, vcc_lo
	s_delay_alu instid0(VALU_DEP_1) | instskip(SKIP_1) | instid1(TRANS32_DEP_1)
	v_sqrt_f32_e32 v67, v64
	v_nop
	v_add_nc_u32_e32 v108, -1, v67
	s_delay_alu instid0(VALU_DEP_1) | instskip(NEXT) | instid1(VALU_DEP_1)
	v_fma_f32 v109, -v108, v67, v64
	v_cmp_ge_f32_e64 s0, 0, v109
	s_delay_alu instid0(VALU_DEP_1) | instskip(NEXT) | instid1(VALU_DEP_1)
	v_dual_add_nc_u32 v109, 1, v67 :: v_dual_cndmask_b32 v108, v67, v108, s0
	v_fma_f32 v67, -v109, v67, v64
	s_delay_alu instid0(VALU_DEP_1) | instskip(NEXT) | instid1(VALU_DEP_1)
	v_cmp_lt_f32_e64 s0, 0, v67
	v_cndmask_b32_e64 v67, v108, v109, s0
	s_delay_alu instid0(VALU_DEP_1) | instskip(NEXT) | instid1(VALU_DEP_1)
	v_mul_f32_e32 v108, 0x37800000, v67
	v_cndmask_b32_e32 v67, v67, v108, vcc_lo
	v_cmp_class_f32_e64 vcc_lo, v64, 0x260
	s_delay_alu instid0(VALU_DEP_2) | instskip(NEXT) | instid1(VALU_DEP_1)
	v_dual_cndmask_b32 v67, v67, v64 :: v_dual_sub_f32 v64, v82, v65
	v_pk_add_f32 v[108:109], v[66:67], v[90:91] op_sel_hi:[1,0] neg_lo:[0,1] neg_hi:[0,1]
	v_pk_fma_f32 v[66:67], v[72:73], v[66:67], 1.0 op_sel_hi:[0,1,0] neg_lo:[1,0,0] neg_hi:[1,0,0]
	s_delay_alu instid0(VALU_DEP_2) | instskip(NEXT) | instid1(VALU_DEP_3)
	v_cmp_gt_f32_e32 vcc_lo, 0, v108
	v_cmp_gt_f32_e64 s0, 0, v109
	v_cmp_gt_f32_e64 s1, s34, v108
	;; [unrolled: 1-line block ×3, first 2 shown]
	v_cndmask_b32_e64 v110, 0, 0x42980000, vcc_lo
	s_delay_alu instid0(VALU_DEP_4) | instskip(NEXT) | instid1(VALU_DEP_1)
	v_cndmask_b32_e64 v111, 0, 0x42980000, s0
	v_pk_fma_f32 v[22:23], v[66:67], v[110:111], v[22:23]
	v_pk_fma_f32 v[66:67], s[18:19], v[108:109], 1.0 op_sel_hi:[0,1,0] neg_lo:[1,0,0] neg_hi:[1,0,0]
	v_cndmask_b32_e64 v111, 0, 1.0, s3
	v_cndmask_b32_e64 v110, 0, 1.0, s1
	v_cmp_gt_f32_e64 s1, s31, v109
	v_cmp_gt_f32_e64 s3, s31, v108
	v_cndmask_b32_e64 v67, v67, 1.0, s0
	v_cndmask_b32_e64 v66, v66, 1.0, vcc_lo
	s_and_b32 s1, s30, s1
	s_and_b32 s3, s30, s3
	s_delay_alu instid0(VALU_DEP_1) | instskip(NEXT) | instid1(VALU_DEP_1)
	v_pk_mul_f32 v[66:67], v[110:111], v[66:67]
	v_pk_mul_f32 v[66:67], v[60:61], v[66:67] op_sel_hi:[0,1]
	s_delay_alu instid0(VALU_DEP_1) | instskip(NEXT) | instid1(VALU_DEP_2)
	v_cndmask_b32_e64 v67, v67, -|v67|, s33
	v_cndmask_b32_e64 v66, v66, -|v66|, s33
	s_delay_alu instid0(VALU_DEP_1) | instskip(SKIP_3) | instid1(VALU_DEP_3)
	v_pk_fma_f32 v[22:23], v[66:67], s[12:13], v[22:23] op_sel_hi:[1,0,1]
	v_pk_fma_f32 v[66:67], v[58:59], v[108:109], 1.0 op_sel_hi:[0,1,0] neg_lo:[1,0,0] neg_hi:[1,0,0]
	v_cndmask_b32_e64 v109, 0, 1.0, s1
	v_cndmask_b32_e64 v108, 0, 1.0, s3
	;; [unrolled: 1-line block ×3, first 2 shown]
	s_delay_alu instid0(VALU_DEP_4) | instskip(NEXT) | instid1(VALU_DEP_3)
	v_cndmask_b32_e64 v66, v66, 1.0, vcc_lo
	v_pk_mul_f32 v[108:109], s[16:17], v[108:109] op_sel_hi:[0,1]
	s_delay_alu instid0(VALU_DEP_1) | instskip(SKIP_1) | instid1(VALU_DEP_1)
	v_pk_fma_f32 v[22:23], v[66:67], v[108:109], v[22:23]
	v_pk_add_f32 v[66:67], v[86:87], v[88:89] neg_lo:[0,1] neg_hi:[0,1]
	v_pk_mul_f32 v[66:67], v[66:67], v[66:67]
	s_delay_alu instid0(VALU_DEP_1) | instskip(NEXT) | instid1(VALU_DEP_1)
	v_fma_f32 v64, v64, v64, v66
	v_add_f32_e32 v64, v64, v67
	s_delay_alu instid0(VALU_DEP_1) | instskip(SKIP_1) | instid1(VALU_DEP_1)
	v_cmp_gt_f32_e32 vcc_lo, 0xf800000, v64
	v_mul_f32_e32 v66, 0x4f800000, v64
	v_cndmask_b32_e32 v64, v64, v66, vcc_lo
	s_delay_alu instid0(VALU_DEP_1) | instskip(SKIP_1) | instid1(TRANS32_DEP_1)
	v_sqrt_f32_e32 v66, v64
	v_nop
	v_add_nc_u32_e32 v67, -1, v66
	s_delay_alu instid0(VALU_DEP_1) | instskip(NEXT) | instid1(VALU_DEP_1)
	v_fma_f32 v108, -v67, v66, v64
	v_cmp_ge_f32_e64 s0, 0, v108
	s_delay_alu instid0(VALU_DEP_1) | instskip(NEXT) | instid1(VALU_DEP_1)
	v_dual_add_nc_u32 v108, 1, v66 :: v_dual_cndmask_b32 v67, v66, v67, s0
	v_fma_f32 v66, -v108, v66, v64
	s_delay_alu instid0(VALU_DEP_1) | instskip(NEXT) | instid1(VALU_DEP_1)
	v_cmp_lt_f32_e64 s0, 0, v66
	v_cndmask_b32_e64 v66, v67, v108, s0
	v_pk_add_f32 v[108:109], v[74:75], v[88:89] neg_lo:[0,1] neg_hi:[0,1]
	s_delay_alu instid0(VALU_DEP_2) | instskip(NEXT) | instid1(VALU_DEP_2)
	v_mul_f32_e32 v67, 0x37800000, v66
	v_pk_mul_f32 v[108:109], v[108:109], v[108:109]
	s_delay_alu instid0(VALU_DEP_2) | instskip(SKIP_1) | instid1(VALU_DEP_1)
	v_cndmask_b32_e32 v66, v66, v67, vcc_lo
	v_cmp_class_f32_e64 vcc_lo, v64, 0x260
	v_dual_cndmask_b32 v66, v66, v64, vcc_lo :: v_dual_sub_f32 v64, v83, v65
	s_delay_alu instid0(VALU_DEP_1) | instskip(NEXT) | instid1(VALU_DEP_1)
	v_fma_f32 v64, v64, v64, v108
	v_add_f32_e32 v64, v64, v109
	s_delay_alu instid0(VALU_DEP_1) | instskip(SKIP_1) | instid1(VALU_DEP_1)
	v_cmp_gt_f32_e32 vcc_lo, 0xf800000, v64
	v_mul_f32_e32 v67, 0x4f800000, v64
	v_cndmask_b32_e32 v64, v64, v67, vcc_lo
	s_delay_alu instid0(VALU_DEP_1) | instskip(SKIP_1) | instid1(TRANS32_DEP_1)
	v_sqrt_f32_e32 v67, v64
	v_nop
	v_add_nc_u32_e32 v108, -1, v67
	s_delay_alu instid0(VALU_DEP_1) | instskip(NEXT) | instid1(VALU_DEP_1)
	v_fma_f32 v109, -v108, v67, v64
	v_cmp_ge_f32_e64 s0, 0, v109
	s_delay_alu instid0(VALU_DEP_1) | instskip(NEXT) | instid1(VALU_DEP_1)
	v_dual_add_nc_u32 v109, 1, v67 :: v_dual_cndmask_b32 v108, v67, v108, s0
	v_fma_f32 v67, -v109, v67, v64
	s_delay_alu instid0(VALU_DEP_1) | instskip(NEXT) | instid1(VALU_DEP_1)
	v_cmp_lt_f32_e64 s0, 0, v67
	v_cndmask_b32_e64 v67, v108, v109, s0
	s_delay_alu instid0(VALU_DEP_1) | instskip(NEXT) | instid1(VALU_DEP_1)
	v_mul_f32_e32 v108, 0x37800000, v67
	v_cndmask_b32_e32 v67, v67, v108, vcc_lo
	v_cmp_class_f32_e64 vcc_lo, v64, 0x260
	s_delay_alu instid0(VALU_DEP_2) | instskip(NEXT) | instid1(VALU_DEP_1)
	v_dual_cndmask_b32 v67, v67, v64 :: v_dual_sub_f32 v64, v96, v65
	v_pk_add_f32 v[108:109], v[66:67], v[90:91] op_sel_hi:[1,0] neg_lo:[0,1] neg_hi:[0,1]
	v_pk_fma_f32 v[66:67], v[72:73], v[66:67], 1.0 op_sel_hi:[0,1,0] neg_lo:[1,0,0] neg_hi:[1,0,0]
	s_delay_alu instid0(VALU_DEP_2) | instskip(NEXT) | instid1(VALU_DEP_3)
	v_cmp_gt_f32_e32 vcc_lo, 0, v108
	v_cmp_gt_f32_e64 s0, 0, v109
	v_cmp_gt_f32_e64 s1, s34, v108
	;; [unrolled: 1-line block ×3, first 2 shown]
	v_cndmask_b32_e64 v110, 0, 0x42980000, vcc_lo
	s_delay_alu instid0(VALU_DEP_4) | instskip(NEXT) | instid1(VALU_DEP_1)
	v_cndmask_b32_e64 v111, 0, 0x42980000, s0
	v_pk_fma_f32 v[24:25], v[66:67], v[110:111], v[24:25]
	v_pk_fma_f32 v[66:67], s[18:19], v[108:109], 1.0 op_sel_hi:[0,1,0] neg_lo:[1,0,0] neg_hi:[1,0,0]
	v_cndmask_b32_e64 v111, 0, 1.0, s3
	v_cndmask_b32_e64 v110, 0, 1.0, s1
	v_cmp_gt_f32_e64 s1, s31, v109
	v_cmp_gt_f32_e64 s3, s31, v108
	v_cndmask_b32_e64 v67, v67, 1.0, s0
	v_cndmask_b32_e64 v66, v66, 1.0, vcc_lo
	s_and_b32 s1, s30, s1
	s_and_b32 s3, s30, s3
	s_delay_alu instid0(VALU_DEP_1) | instskip(NEXT) | instid1(VALU_DEP_1)
	v_pk_mul_f32 v[66:67], v[110:111], v[66:67]
	v_pk_mul_f32 v[66:67], v[60:61], v[66:67] op_sel_hi:[0,1]
	s_delay_alu instid0(VALU_DEP_1) | instskip(NEXT) | instid1(VALU_DEP_2)
	v_cndmask_b32_e64 v67, v67, -|v67|, s33
	v_cndmask_b32_e64 v66, v66, -|v66|, s33
	s_delay_alu instid0(VALU_DEP_1) | instskip(SKIP_3) | instid1(VALU_DEP_3)
	v_pk_fma_f32 v[24:25], v[66:67], s[12:13], v[24:25] op_sel_hi:[1,0,1]
	v_pk_fma_f32 v[66:67], v[58:59], v[108:109], 1.0 op_sel_hi:[0,1,0] neg_lo:[1,0,0] neg_hi:[1,0,0]
	v_cndmask_b32_e64 v109, 0, 1.0, s1
	v_cndmask_b32_e64 v108, 0, 1.0, s3
	;; [unrolled: 1-line block ×3, first 2 shown]
	s_delay_alu instid0(VALU_DEP_4) | instskip(NEXT) | instid1(VALU_DEP_3)
	v_cndmask_b32_e64 v66, v66, 1.0, vcc_lo
	v_pk_mul_f32 v[108:109], s[16:17], v[108:109] op_sel_hi:[0,1]
	s_delay_alu instid0(VALU_DEP_1) | instskip(SKIP_1) | instid1(VALU_DEP_1)
	v_pk_fma_f32 v[24:25], v[66:67], v[108:109], v[24:25]
	v_pk_add_f32 v[66:67], v[46:47], v[88:89] neg_lo:[0,1] neg_hi:[0,1]
	v_pk_mul_f32 v[66:67], v[66:67], v[66:67]
	s_delay_alu instid0(VALU_DEP_1) | instskip(NEXT) | instid1(VALU_DEP_1)
	v_fma_f32 v64, v64, v64, v66
	v_add_f32_e32 v64, v64, v67
	s_delay_alu instid0(VALU_DEP_1) | instskip(SKIP_1) | instid1(VALU_DEP_1)
	v_cmp_gt_f32_e32 vcc_lo, 0xf800000, v64
	v_mul_f32_e32 v66, 0x4f800000, v64
	v_cndmask_b32_e32 v64, v64, v66, vcc_lo
	s_delay_alu instid0(VALU_DEP_1) | instskip(SKIP_1) | instid1(TRANS32_DEP_1)
	v_sqrt_f32_e32 v66, v64
	v_nop
	v_add_nc_u32_e32 v67, -1, v66
	s_delay_alu instid0(VALU_DEP_1) | instskip(NEXT) | instid1(VALU_DEP_1)
	v_fma_f32 v108, -v67, v66, v64
	v_cmp_ge_f32_e64 s0, 0, v108
	s_delay_alu instid0(VALU_DEP_1) | instskip(NEXT) | instid1(VALU_DEP_1)
	v_dual_add_nc_u32 v108, 1, v66 :: v_dual_cndmask_b32 v67, v66, v67, s0
	v_fma_f32 v66, -v108, v66, v64
	s_delay_alu instid0(VALU_DEP_1) | instskip(NEXT) | instid1(VALU_DEP_1)
	v_cmp_lt_f32_e64 s0, 0, v66
	v_cndmask_b32_e64 v66, v67, v108, s0
	v_pk_add_f32 v[108:109], v[62:63], v[88:89] neg_lo:[0,1] neg_hi:[0,1]
	s_delay_alu instid0(VALU_DEP_2) | instskip(NEXT) | instid1(VALU_DEP_2)
	v_mul_f32_e32 v67, 0x37800000, v66
	v_pk_mul_f32 v[108:109], v[108:109], v[108:109]
	s_delay_alu instid0(VALU_DEP_2) | instskip(SKIP_1) | instid1(VALU_DEP_1)
	v_cndmask_b32_e32 v66, v66, v67, vcc_lo
	v_cmp_class_f32_e64 vcc_lo, v64, 0x260
	v_dual_cndmask_b32 v66, v66, v64, vcc_lo :: v_dual_sub_f32 v64, v97, v65
	s_delay_alu instid0(VALU_DEP_1) | instskip(NEXT) | instid1(VALU_DEP_1)
	v_fma_f32 v64, v64, v64, v108
	v_add_f32_e32 v64, v64, v109
	s_delay_alu instid0(VALU_DEP_1) | instskip(SKIP_1) | instid1(VALU_DEP_1)
	v_cmp_gt_f32_e32 vcc_lo, 0xf800000, v64
	v_mul_f32_e32 v67, 0x4f800000, v64
	v_cndmask_b32_e32 v64, v64, v67, vcc_lo
	s_delay_alu instid0(VALU_DEP_1) | instskip(SKIP_1) | instid1(TRANS32_DEP_1)
	v_sqrt_f32_e32 v67, v64
	v_nop
	v_add_nc_u32_e32 v108, -1, v67
	s_delay_alu instid0(VALU_DEP_1) | instskip(NEXT) | instid1(VALU_DEP_1)
	v_fma_f32 v109, -v108, v67, v64
	v_cmp_ge_f32_e64 s0, 0, v109
	s_delay_alu instid0(VALU_DEP_1) | instskip(NEXT) | instid1(VALU_DEP_1)
	v_dual_add_nc_u32 v109, 1, v67 :: v_dual_cndmask_b32 v108, v67, v108, s0
	v_fma_f32 v67, -v109, v67, v64
	s_delay_alu instid0(VALU_DEP_1) | instskip(NEXT) | instid1(VALU_DEP_1)
	v_cmp_lt_f32_e64 s0, 0, v67
	v_cndmask_b32_e64 v67, v108, v109, s0
	s_delay_alu instid0(VALU_DEP_1) | instskip(NEXT) | instid1(VALU_DEP_1)
	v_mul_f32_e32 v108, 0x37800000, v67
	v_cndmask_b32_e32 v67, v67, v108, vcc_lo
	v_cmp_class_f32_e64 vcc_lo, v64, 0x260
	s_delay_alu instid0(VALU_DEP_2) | instskip(NEXT) | instid1(VALU_DEP_1)
	v_dual_cndmask_b32 v67, v67, v64 :: v_dual_sub_f32 v64, v98, v65
	v_pk_add_f32 v[108:109], v[66:67], v[90:91] op_sel_hi:[1,0] neg_lo:[0,1] neg_hi:[0,1]
	v_pk_fma_f32 v[66:67], v[72:73], v[66:67], 1.0 op_sel_hi:[0,1,0] neg_lo:[1,0,0] neg_hi:[1,0,0]
	s_delay_alu instid0(VALU_DEP_2) | instskip(NEXT) | instid1(VALU_DEP_3)
	v_cmp_gt_f32_e32 vcc_lo, 0, v108
	v_cmp_gt_f32_e64 s0, 0, v109
	v_cmp_gt_f32_e64 s1, s34, v108
	;; [unrolled: 1-line block ×3, first 2 shown]
	v_cndmask_b32_e64 v110, 0, 0x42980000, vcc_lo
	s_delay_alu instid0(VALU_DEP_4) | instskip(NEXT) | instid1(VALU_DEP_1)
	v_cndmask_b32_e64 v111, 0, 0x42980000, s0
	v_pk_fma_f32 v[14:15], v[66:67], v[110:111], v[14:15]
	v_pk_fma_f32 v[66:67], s[18:19], v[108:109], 1.0 op_sel_hi:[0,1,0] neg_lo:[1,0,0] neg_hi:[1,0,0]
	v_cndmask_b32_e64 v111, 0, 1.0, s3
	v_cndmask_b32_e64 v110, 0, 1.0, s1
	v_cmp_gt_f32_e64 s1, s31, v109
	v_cmp_gt_f32_e64 s3, s31, v108
	v_cndmask_b32_e64 v67, v67, 1.0, s0
	v_cndmask_b32_e64 v66, v66, 1.0, vcc_lo
	s_and_b32 s1, s30, s1
	s_and_b32 s3, s30, s3
	s_delay_alu instid0(VALU_DEP_1) | instskip(NEXT) | instid1(VALU_DEP_1)
	v_pk_mul_f32 v[66:67], v[110:111], v[66:67]
	v_pk_mul_f32 v[66:67], v[60:61], v[66:67] op_sel_hi:[0,1]
	s_delay_alu instid0(VALU_DEP_1) | instskip(NEXT) | instid1(VALU_DEP_2)
	v_cndmask_b32_e64 v67, v67, -|v67|, s33
	v_cndmask_b32_e64 v66, v66, -|v66|, s33
	s_delay_alu instid0(VALU_DEP_1) | instskip(SKIP_3) | instid1(VALU_DEP_3)
	v_pk_fma_f32 v[14:15], v[66:67], s[12:13], v[14:15] op_sel_hi:[1,0,1]
	v_pk_fma_f32 v[66:67], v[58:59], v[108:109], 1.0 op_sel_hi:[0,1,0] neg_lo:[1,0,0] neg_hi:[1,0,0]
	v_cndmask_b32_e64 v109, 0, 1.0, s1
	v_cndmask_b32_e64 v108, 0, 1.0, s3
	;; [unrolled: 1-line block ×3, first 2 shown]
	s_delay_alu instid0(VALU_DEP_4) | instskip(NEXT) | instid1(VALU_DEP_3)
	v_cndmask_b32_e64 v66, v66, 1.0, vcc_lo
	v_pk_mul_f32 v[108:109], s[16:17], v[108:109] op_sel_hi:[0,1]
	s_delay_alu instid0(VALU_DEP_1) | instskip(SKIP_1) | instid1(VALU_DEP_1)
	v_pk_fma_f32 v[14:15], v[66:67], v[108:109], v[14:15]
	v_pk_add_f32 v[66:67], v[84:85], v[88:89] neg_lo:[0,1] neg_hi:[0,1]
	v_pk_mul_f32 v[66:67], v[66:67], v[66:67]
	s_delay_alu instid0(VALU_DEP_1) | instskip(NEXT) | instid1(VALU_DEP_1)
	v_fma_f32 v64, v64, v64, v66
	v_add_f32_e32 v64, v64, v67
	s_delay_alu instid0(VALU_DEP_1) | instskip(SKIP_1) | instid1(VALU_DEP_1)
	v_cmp_gt_f32_e32 vcc_lo, 0xf800000, v64
	v_mul_f32_e32 v66, 0x4f800000, v64
	v_cndmask_b32_e32 v64, v64, v66, vcc_lo
	s_delay_alu instid0(VALU_DEP_1) | instskip(SKIP_1) | instid1(TRANS32_DEP_1)
	v_sqrt_f32_e32 v66, v64
	v_nop
	v_add_nc_u32_e32 v67, -1, v66
	s_delay_alu instid0(VALU_DEP_1) | instskip(NEXT) | instid1(VALU_DEP_1)
	v_fma_f32 v108, -v67, v66, v64
	v_cmp_ge_f32_e64 s0, 0, v108
	s_delay_alu instid0(VALU_DEP_1) | instskip(NEXT) | instid1(VALU_DEP_1)
	v_dual_add_nc_u32 v108, 1, v66 :: v_dual_cndmask_b32 v67, v66, v67, s0
	v_fma_f32 v66, -v108, v66, v64
	s_delay_alu instid0(VALU_DEP_1) | instskip(NEXT) | instid1(VALU_DEP_1)
	v_cmp_lt_f32_e64 s0, 0, v66
	v_cndmask_b32_e64 v66, v67, v108, s0
	v_pk_add_f32 v[108:109], v[92:93], v[88:89] neg_lo:[0,1] neg_hi:[0,1]
	s_delay_alu instid0(VALU_DEP_2) | instskip(NEXT) | instid1(VALU_DEP_2)
	v_mul_f32_e32 v67, 0x37800000, v66
	v_pk_mul_f32 v[108:109], v[108:109], v[108:109]
	s_delay_alu instid0(VALU_DEP_2) | instskip(SKIP_1) | instid1(VALU_DEP_1)
	v_cndmask_b32_e32 v66, v66, v67, vcc_lo
	v_cmp_class_f32_e64 vcc_lo, v64, 0x260
	v_dual_cndmask_b32 v66, v66, v64, vcc_lo :: v_dual_sub_f32 v64, v99, v65
	s_delay_alu instid0(VALU_DEP_1) | instskip(NEXT) | instid1(VALU_DEP_1)
	v_fma_f32 v64, v64, v64, v108
	v_add_f32_e32 v64, v64, v109
	s_delay_alu instid0(VALU_DEP_1) | instskip(SKIP_1) | instid1(VALU_DEP_1)
	v_cmp_gt_f32_e32 vcc_lo, 0xf800000, v64
	v_mul_f32_e32 v67, 0x4f800000, v64
	v_cndmask_b32_e32 v64, v64, v67, vcc_lo
	s_delay_alu instid0(VALU_DEP_1) | instskip(SKIP_1) | instid1(TRANS32_DEP_1)
	v_sqrt_f32_e32 v67, v64
	v_nop
	v_add_nc_u32_e32 v108, -1, v67
	s_delay_alu instid0(VALU_DEP_1) | instskip(NEXT) | instid1(VALU_DEP_1)
	v_fma_f32 v109, -v108, v67, v64
	v_cmp_ge_f32_e64 s0, 0, v109
	s_delay_alu instid0(VALU_DEP_1) | instskip(NEXT) | instid1(VALU_DEP_1)
	v_dual_add_nc_u32 v109, 1, v67 :: v_dual_cndmask_b32 v108, v67, v108, s0
	v_fma_f32 v67, -v109, v67, v64
	s_delay_alu instid0(VALU_DEP_1) | instskip(NEXT) | instid1(VALU_DEP_1)
	v_cmp_lt_f32_e64 s0, 0, v67
	v_cndmask_b32_e64 v67, v108, v109, s0
	s_delay_alu instid0(VALU_DEP_1) | instskip(NEXT) | instid1(VALU_DEP_1)
	v_mul_f32_e32 v108, 0x37800000, v67
	v_cndmask_b32_e32 v67, v67, v108, vcc_lo
	v_cmp_class_f32_e64 vcc_lo, v64, 0x260
	s_delay_alu instid0(VALU_DEP_2) | instskip(NEXT) | instid1(VALU_DEP_1)
	v_dual_cndmask_b32 v67, v67, v64 :: v_dual_sub_f32 v64, v104, v65
	v_pk_add_f32 v[108:109], v[66:67], v[90:91] op_sel_hi:[1,0] neg_lo:[0,1] neg_hi:[0,1]
	v_pk_fma_f32 v[66:67], v[72:73], v[66:67], 1.0 op_sel_hi:[0,1,0] neg_lo:[1,0,0] neg_hi:[1,0,0]
	s_delay_alu instid0(VALU_DEP_2) | instskip(NEXT) | instid1(VALU_DEP_3)
	v_cmp_gt_f32_e32 vcc_lo, 0, v108
	v_cmp_gt_f32_e64 s0, 0, v109
	v_cmp_gt_f32_e64 s1, s34, v108
	;; [unrolled: 1-line block ×3, first 2 shown]
	v_cndmask_b32_e64 v110, 0, 0x42980000, vcc_lo
	s_delay_alu instid0(VALU_DEP_4) | instskip(NEXT) | instid1(VALU_DEP_1)
	v_cndmask_b32_e64 v111, 0, 0x42980000, s0
	v_pk_fma_f32 v[16:17], v[66:67], v[110:111], v[16:17]
	v_pk_fma_f32 v[66:67], s[18:19], v[108:109], 1.0 op_sel_hi:[0,1,0] neg_lo:[1,0,0] neg_hi:[1,0,0]
	v_cndmask_b32_e64 v111, 0, 1.0, s3
	v_cndmask_b32_e64 v110, 0, 1.0, s1
	v_cmp_gt_f32_e64 s1, s31, v109
	v_cmp_gt_f32_e64 s3, s31, v108
	v_cndmask_b32_e64 v67, v67, 1.0, s0
	v_cndmask_b32_e64 v66, v66, 1.0, vcc_lo
	s_and_b32 s1, s30, s1
	s_and_b32 s3, s30, s3
	s_delay_alu instid0(VALU_DEP_1) | instskip(NEXT) | instid1(VALU_DEP_1)
	v_pk_mul_f32 v[66:67], v[110:111], v[66:67]
	v_pk_mul_f32 v[66:67], v[60:61], v[66:67] op_sel_hi:[0,1]
	s_delay_alu instid0(VALU_DEP_1) | instskip(NEXT) | instid1(VALU_DEP_2)
	v_cndmask_b32_e64 v67, v67, -|v67|, s33
	v_cndmask_b32_e64 v66, v66, -|v66|, s33
	s_delay_alu instid0(VALU_DEP_1) | instskip(SKIP_3) | instid1(VALU_DEP_3)
	v_pk_fma_f32 v[16:17], v[66:67], s[12:13], v[16:17] op_sel_hi:[1,0,1]
	v_pk_fma_f32 v[66:67], v[58:59], v[108:109], 1.0 op_sel_hi:[0,1,0] neg_lo:[1,0,0] neg_hi:[1,0,0]
	v_cndmask_b32_e64 v109, 0, 1.0, s1
	v_cndmask_b32_e64 v108, 0, 1.0, s3
	;; [unrolled: 1-line block ×3, first 2 shown]
	s_delay_alu instid0(VALU_DEP_4) | instskip(NEXT) | instid1(VALU_DEP_3)
	v_cndmask_b32_e64 v66, v66, 1.0, vcc_lo
	v_pk_mul_f32 v[108:109], s[16:17], v[108:109] op_sel_hi:[0,1]
	s_delay_alu instid0(VALU_DEP_1) | instskip(SKIP_1) | instid1(VALU_DEP_1)
	v_pk_fma_f32 v[16:17], v[66:67], v[108:109], v[16:17]
	v_pk_add_f32 v[66:67], v[94:95], v[88:89] neg_lo:[0,1] neg_hi:[0,1]
	v_pk_mul_f32 v[66:67], v[66:67], v[66:67]
	s_delay_alu instid0(VALU_DEP_1) | instskip(NEXT) | instid1(VALU_DEP_1)
	v_fma_f32 v64, v64, v64, v66
	v_add_f32_e32 v64, v64, v67
	s_delay_alu instid0(VALU_DEP_1) | instskip(SKIP_1) | instid1(VALU_DEP_1)
	v_cmp_gt_f32_e32 vcc_lo, 0xf800000, v64
	v_mul_f32_e32 v66, 0x4f800000, v64
	v_cndmask_b32_e32 v64, v64, v66, vcc_lo
	s_delay_alu instid0(VALU_DEP_1) | instskip(SKIP_1) | instid1(TRANS32_DEP_1)
	v_sqrt_f32_e32 v66, v64
	v_nop
	v_add_nc_u32_e32 v67, -1, v66
	s_delay_alu instid0(VALU_DEP_1) | instskip(NEXT) | instid1(VALU_DEP_1)
	v_fma_f32 v108, -v67, v66, v64
	v_cmp_ge_f32_e64 s0, 0, v108
	s_delay_alu instid0(VALU_DEP_1) | instskip(NEXT) | instid1(VALU_DEP_1)
	v_dual_add_nc_u32 v108, 1, v66 :: v_dual_cndmask_b32 v67, v66, v67, s0
	v_fma_f32 v66, -v108, v66, v64
	s_delay_alu instid0(VALU_DEP_1) | instskip(NEXT) | instid1(VALU_DEP_1)
	v_cmp_lt_f32_e64 s0, 0, v66
	v_cndmask_b32_e64 v66, v67, v108, s0
	v_pk_add_f32 v[108:109], v[102:103], v[88:89] neg_lo:[0,1] neg_hi:[0,1]
	s_delay_alu instid0(VALU_DEP_2) | instskip(NEXT) | instid1(VALU_DEP_2)
	v_mul_f32_e32 v67, 0x37800000, v66
	v_pk_mul_f32 v[108:109], v[108:109], v[108:109]
	s_delay_alu instid0(VALU_DEP_2) | instskip(SKIP_1) | instid1(VALU_DEP_1)
	v_cndmask_b32_e32 v66, v66, v67, vcc_lo
	v_cmp_class_f32_e64 vcc_lo, v64, 0x260
	v_dual_cndmask_b32 v66, v66, v64, vcc_lo :: v_dual_sub_f32 v64, v105, v65
	s_delay_alu instid0(VALU_DEP_1) | instskip(NEXT) | instid1(VALU_DEP_1)
	v_fma_f32 v64, v64, v64, v108
	v_add_f32_e32 v64, v64, v109
	s_delay_alu instid0(VALU_DEP_1) | instskip(SKIP_1) | instid1(VALU_DEP_1)
	v_cmp_gt_f32_e32 vcc_lo, 0xf800000, v64
	v_mul_f32_e32 v67, 0x4f800000, v64
	v_cndmask_b32_e32 v64, v64, v67, vcc_lo
	s_delay_alu instid0(VALU_DEP_1) | instskip(SKIP_1) | instid1(TRANS32_DEP_1)
	v_sqrt_f32_e32 v67, v64
	v_nop
	v_add_nc_u32_e32 v108, -1, v67
	s_delay_alu instid0(VALU_DEP_1) | instskip(NEXT) | instid1(VALU_DEP_1)
	v_fma_f32 v109, -v108, v67, v64
	v_cmp_ge_f32_e64 s0, 0, v109
	s_delay_alu instid0(VALU_DEP_1) | instskip(NEXT) | instid1(VALU_DEP_1)
	v_dual_add_nc_u32 v109, 1, v67 :: v_dual_cndmask_b32 v108, v67, v108, s0
	v_fma_f32 v67, -v109, v67, v64
	s_delay_alu instid0(VALU_DEP_1) | instskip(NEXT) | instid1(VALU_DEP_1)
	v_cmp_lt_f32_e64 s0, 0, v67
	v_cndmask_b32_e64 v67, v108, v109, s0
	s_delay_alu instid0(VALU_DEP_1) | instskip(NEXT) | instid1(VALU_DEP_1)
	v_mul_f32_e32 v108, 0x37800000, v67
	v_cndmask_b32_e32 v67, v67, v108, vcc_lo
	v_cmp_class_f32_e64 vcc_lo, v64, 0x260
	s_delay_alu instid0(VALU_DEP_2) | instskip(SKIP_1) | instid1(VALU_DEP_2)
	v_dual_cndmask_b32 v67, v67, v64 :: v_dual_sub_f32 v64, v106, v65
	v_sub_f32_e32 v65, v107, v65
	v_pk_add_f32 v[108:109], v[66:67], v[90:91] op_sel_hi:[1,0] neg_lo:[0,1] neg_hi:[0,1]
	v_pk_fma_f32 v[66:67], v[72:73], v[66:67], 1.0 op_sel_hi:[0,1,0] neg_lo:[1,0,0] neg_hi:[1,0,0]
	s_delay_alu instid0(VALU_DEP_2) | instskip(NEXT) | instid1(VALU_DEP_3)
	v_cmp_gt_f32_e32 vcc_lo, 0, v108
	v_cmp_gt_f32_e64 s0, 0, v109
	v_cmp_gt_f32_e64 s1, s34, v108
	;; [unrolled: 1-line block ×3, first 2 shown]
	v_cndmask_b32_e64 v110, 0, 0x42980000, vcc_lo
	s_delay_alu instid0(VALU_DEP_4) | instskip(NEXT) | instid1(VALU_DEP_1)
	v_cndmask_b32_e64 v111, 0, 0x42980000, s0
	v_pk_fma_f32 v[6:7], v[66:67], v[110:111], v[6:7]
	v_pk_fma_f32 v[66:67], s[18:19], v[108:109], 1.0 op_sel_hi:[0,1,0] neg_lo:[1,0,0] neg_hi:[1,0,0]
	v_cndmask_b32_e64 v111, 0, 1.0, s3
	v_cndmask_b32_e64 v110, 0, 1.0, s1
	v_cmp_gt_f32_e64 s1, s31, v109
	v_cmp_gt_f32_e64 s3, s31, v108
	v_cndmask_b32_e64 v67, v67, 1.0, s0
	v_cndmask_b32_e64 v66, v66, 1.0, vcc_lo
	s_and_b32 s1, s30, s1
	s_and_b32 s3, s30, s3
	s_delay_alu instid0(VALU_DEP_1) | instskip(NEXT) | instid1(VALU_DEP_1)
	v_pk_mul_f32 v[66:67], v[110:111], v[66:67]
	v_pk_mul_f32 v[66:67], v[60:61], v[66:67] op_sel_hi:[0,1]
	s_delay_alu instid0(VALU_DEP_1) | instskip(NEXT) | instid1(VALU_DEP_2)
	v_cndmask_b32_e64 v67, v67, -|v67|, s33
	v_cndmask_b32_e64 v66, v66, -|v66|, s33
	s_delay_alu instid0(VALU_DEP_1) | instskip(SKIP_3) | instid1(VALU_DEP_3)
	v_pk_fma_f32 v[6:7], v[66:67], s[12:13], v[6:7] op_sel_hi:[1,0,1]
	v_pk_fma_f32 v[66:67], v[58:59], v[108:109], 1.0 op_sel_hi:[0,1,0] neg_lo:[1,0,0] neg_hi:[1,0,0]
	v_cndmask_b32_e64 v109, 0, 1.0, s1
	v_cndmask_b32_e64 v108, 0, 1.0, s3
	v_cndmask_b32_e64 v67, v67, 1.0, s0
	s_delay_alu instid0(VALU_DEP_4) | instskip(NEXT) | instid1(VALU_DEP_3)
	v_cndmask_b32_e64 v66, v66, 1.0, vcc_lo
	v_pk_mul_f32 v[108:109], s[16:17], v[108:109] op_sel_hi:[0,1]
	s_delay_alu instid0(VALU_DEP_1) | instskip(SKIP_1) | instid1(VALU_DEP_1)
	v_pk_fma_f32 v[6:7], v[66:67], v[108:109], v[6:7]
	v_pk_add_f32 v[66:67], v[40:41], v[88:89] neg_lo:[0,1] neg_hi:[0,1]
	v_pk_mul_f32 v[66:67], v[66:67], v[66:67]
	s_delay_alu instid0(VALU_DEP_1) | instskip(NEXT) | instid1(VALU_DEP_1)
	v_fma_f32 v64, v64, v64, v66
	v_add_f32_e32 v64, v64, v67
	s_delay_alu instid0(VALU_DEP_1) | instskip(SKIP_1) | instid1(VALU_DEP_1)
	v_cmp_gt_f32_e32 vcc_lo, 0xf800000, v64
	v_mul_f32_e32 v66, 0x4f800000, v64
	v_cndmask_b32_e32 v64, v64, v66, vcc_lo
	s_delay_alu instid0(VALU_DEP_1) | instskip(SKIP_1) | instid1(TRANS32_DEP_1)
	v_sqrt_f32_e32 v66, v64
	v_nop
	v_add_nc_u32_e32 v67, -1, v66
	s_delay_alu instid0(VALU_DEP_1) | instskip(NEXT) | instid1(VALU_DEP_1)
	v_fma_f32 v108, -v67, v66, v64
	v_cmp_ge_f32_e64 s0, 0, v108
	s_delay_alu instid0(VALU_DEP_1) | instskip(NEXT) | instid1(VALU_DEP_1)
	v_dual_add_nc_u32 v108, 1, v66 :: v_dual_cndmask_b32 v67, v66, v67, s0
	v_fma_f32 v66, -v108, v66, v64
	s_delay_alu instid0(VALU_DEP_1) | instskip(NEXT) | instid1(VALU_DEP_1)
	v_cmp_lt_f32_e64 s0, 0, v66
	v_cndmask_b32_e64 v66, v67, v108, s0
	s_delay_alu instid0(VALU_DEP_1) | instskip(NEXT) | instid1(VALU_DEP_1)
	v_mul_f32_e32 v67, 0x37800000, v66
	v_cndmask_b32_e32 v66, v66, v67, vcc_lo
	v_cmp_class_f32_e64 vcc_lo, v64, 0x260
	s_delay_alu instid0(VALU_DEP_2) | instskip(SKIP_1) | instid1(VALU_DEP_1)
	v_cndmask_b32_e32 v64, v66, v64, vcc_lo
	v_pk_add_f32 v[66:67], v[56:57], v[88:89] neg_lo:[0,1] neg_hi:[0,1]
	v_pk_mul_f32 v[66:67], v[66:67], v[66:67]
	s_delay_alu instid0(VALU_DEP_1) | instskip(NEXT) | instid1(VALU_DEP_1)
	v_fma_f32 v65, v65, v65, v66
	v_add_f32_e32 v65, v65, v67
	s_delay_alu instid0(VALU_DEP_1) | instskip(SKIP_1) | instid1(VALU_DEP_1)
	v_cmp_gt_f32_e32 vcc_lo, 0xf800000, v65
	v_mul_f32_e32 v66, 0x4f800000, v65
	v_cndmask_b32_e32 v65, v65, v66, vcc_lo
	s_delay_alu instid0(VALU_DEP_1) | instskip(SKIP_1) | instid1(TRANS32_DEP_1)
	v_sqrt_f32_e32 v66, v65
	v_nop
	v_add_nc_u32_e32 v67, -1, v66
	s_delay_alu instid0(VALU_DEP_1) | instskip(NEXT) | instid1(VALU_DEP_1)
	v_fma_f32 v88, -v67, v66, v65
	v_cmp_ge_f32_e64 s0, 0, v88
	s_delay_alu instid0(VALU_DEP_1) | instskip(NEXT) | instid1(VALU_DEP_1)
	v_dual_add_nc_u32 v88, 1, v66 :: v_dual_cndmask_b32 v67, v66, v67, s0
	v_fma_f32 v66, -v88, v66, v65
	s_delay_alu instid0(VALU_DEP_1) | instskip(NEXT) | instid1(VALU_DEP_1)
	v_cmp_lt_f32_e64 s0, 0, v66
	v_cndmask_b32_e64 v66, v67, v88, s0
	s_delay_alu instid0(VALU_DEP_1) | instskip(NEXT) | instid1(VALU_DEP_1)
	v_mul_f32_e32 v67, 0x37800000, v66
	v_cndmask_b32_e32 v66, v66, v67, vcc_lo
	v_cmp_class_f32_e64 vcc_lo, v65, 0x260
	s_delay_alu instid0(VALU_DEP_2) | instskip(NEXT) | instid1(VALU_DEP_1)
	v_cndmask_b32_e32 v65, v66, v65, vcc_lo
	v_pk_add_f32 v[66:67], v[64:65], v[90:91] op_sel_hi:[1,0] neg_lo:[0,1] neg_hi:[0,1]
	v_pk_fma_f32 v[64:65], v[72:73], v[64:65], 1.0 op_sel_hi:[0,1,0] neg_lo:[1,0,0] neg_hi:[1,0,0]
	s_delay_alu instid0(VALU_DEP_2) | instskip(NEXT) | instid1(VALU_DEP_3)
	v_cmp_gt_f32_e32 vcc_lo, 0, v66
	v_cmp_gt_f32_e64 s0, 0, v67
	v_cmp_gt_f32_e64 s1, s34, v66
	;; [unrolled: 1-line block ×3, first 2 shown]
	v_cndmask_b32_e64 v88, 0, 0x42980000, vcc_lo
	s_delay_alu instid0(VALU_DEP_4) | instskip(NEXT) | instid1(VALU_DEP_1)
	v_cndmask_b32_e64 v89, 0, 0x42980000, s0
	v_pk_fma_f32 v[8:9], v[64:65], v[88:89], v[8:9]
	v_pk_fma_f32 v[64:65], s[18:19], v[66:67], 1.0 op_sel_hi:[0,1,0] neg_lo:[1,0,0] neg_hi:[1,0,0]
	v_cndmask_b32_e64 v89, 0, 1.0, s3
	v_cndmask_b32_e64 v88, 0, 1.0, s1
	v_cmp_gt_f32_e64 s1, s31, v67
	v_cmp_gt_f32_e64 s3, s31, v66
	v_cndmask_b32_e64 v65, v65, 1.0, s0
	v_cndmask_b32_e64 v64, v64, 1.0, vcc_lo
	s_and_b32 s1, s30, s1
	s_and_b32 s3, s30, s3
	s_cmp_lg_u32 s25, 0
	s_delay_alu instid0(VALU_DEP_1) | instskip(NEXT) | instid1(VALU_DEP_1)
	v_pk_mul_f32 v[64:65], v[88:89], v[64:65]
	v_pk_mul_f32 v[64:65], v[60:61], v[64:65] op_sel_hi:[0,1]
	s_delay_alu instid0(VALU_DEP_1) | instskip(NEXT) | instid1(VALU_DEP_2)
	v_cndmask_b32_e64 v65, v65, -|v65|, s33
	v_cndmask_b32_e64 v64, v64, -|v64|, s33
	s_delay_alu instid0(VALU_DEP_1) | instskip(SKIP_3) | instid1(VALU_DEP_3)
	v_pk_fma_f32 v[8:9], v[64:65], s[12:13], v[8:9] op_sel_hi:[1,0,1]
	v_pk_fma_f32 v[64:65], v[58:59], v[66:67], 1.0 op_sel_hi:[0,1,0] neg_lo:[1,0,0] neg_hi:[1,0,0]
	v_cndmask_b32_e64 v67, 0, 1.0, s1
	v_cndmask_b32_e64 v66, 0, 1.0, s3
	;; [unrolled: 1-line block ×3, first 2 shown]
	s_delay_alu instid0(VALU_DEP_4) | instskip(NEXT) | instid1(VALU_DEP_3)
	v_cndmask_b32_e64 v64, v64, 1.0, vcc_lo
	v_pk_mul_f32 v[66:67], s[16:17], v[66:67] op_sel_hi:[0,1]
	s_delay_alu instid0(VALU_DEP_1)
	v_pk_fma_f32 v[8:9], v[64:65], v[66:67], v[8:9]
	s_cbranch_scc1 .LBB4_28
; %bb.29:                               ;   in Loop: Header=BB4_27 Depth=1
	s_add_co_i32 s13, s13, 1
	s_delay_alu instid0(SALU_CYCLE_1)
	s_cmp_lg_u32 s13, s19
	s_cbranch_scc1 .LBB4_27
; %bb.30:
	s_clause 0x3
	scratch_store_b128 off, v[30:33], off
	scratch_store_b128 off, v[22:25], off offset:16
	scratch_store_b128 off, v[14:17], off offset:32
	;; [unrolled: 1-line block ×3, first 2 shown]
	s_wait_xcnt 0x0
	s_and_saveexec_b32 s0, s2
	s_cbranch_execz .LBB4_32
; %bb.31:
	scratch_load_b32 v20, off, off offset:1712 th:TH_LOAD_LU ; 4-byte Folded Reload
	v_dual_mul_f32 v12, 0.5, v30 :: v_dual_mul_f32 v13, 0.5, v31
	s_wait_loadcnt 0x0
	v_add_nc_u32_e32 v0, s26, v20
	s_delay_alu instid0(VALU_DEP_1) | instskip(NEXT) | instid1(VALU_DEP_1)
	v_add_nc_u32_e32 v1, s26, v0
	v_add_nc_u32_e32 v2, s26, v1
	s_delay_alu instid0(VALU_DEP_1) | instskip(NEXT) | instid1(VALU_DEP_1)
	v_add_nc_u32_e32 v3, s26, v2
	;; [unrolled: 3-line block ×3, first 2 shown]
	v_add_nc_u32_e32 v10, s26, v5
	s_delay_alu instid0(VALU_DEP_1) | instskip(NEXT) | instid1(VALU_DEP_1)
	v_dual_mul_f32 v18, 0.5, v32 :: v_dual_add_nc_u32 v11, s26, v10
	v_add_nc_u32_e32 v19, s26, v11
	s_clause 0x2
	global_store_b32 v20, v12, s[4:5] scale_offset
	global_store_b32 v0, v13, s[4:5] scale_offset
	;; [unrolled: 1-line block ×3, first 2 shown]
	s_wait_xcnt 0x1
	v_dual_mul_f32 v0, 0.5, v33 :: v_dual_mul_f32 v12, 0.5, v22
	v_mul_f32_e32 v13, 0.5, v23
	s_wait_xcnt 0x0
	v_dual_mul_f32 v18, 0.5, v24 :: v_dual_add_nc_u32 v1, s26, v19
	global_store_b32 v2, v0, s[4:5] scale_offset
	s_wait_xcnt 0x0
	v_add_nc_u32_e32 v0, s26, v1
	s_clause 0x2
	global_store_b32 v3, v12, s[4:5] scale_offset
	global_store_b32 v4, v13, s[4:5] scale_offset
	;; [unrolled: 1-line block ×3, first 2 shown]
	s_wait_xcnt 0x1
	v_dual_mul_f32 v2, 0.5, v25 :: v_dual_mul_f32 v4, 0.5, v14
	s_wait_xcnt 0x0
	v_dual_mul_f32 v5, 0.5, v15 :: v_dual_add_nc_u32 v3, s26, v0
	v_mul_f32_e32 v12, 0.5, v16
	global_store_b32 v10, v2, s[4:5] scale_offset
	s_wait_xcnt 0x0
	v_add_nc_u32_e32 v2, s26, v3
	s_clause 0x2
	global_store_b32 v11, v4, s[4:5] scale_offset
	global_store_b32 v19, v5, s[4:5] scale_offset
	;; [unrolled: 1-line block ×3, first 2 shown]
	s_wait_xcnt 0x0
	v_dual_mul_f32 v1, 0.5, v17 :: v_dual_mul_f32 v5, 0.5, v6
	v_dual_mul_f32 v6, 0.5, v7 :: v_dual_add_nc_u32 v4, s26, v2
	v_dual_mul_f32 v7, 0.5, v8 :: v_dual_mul_f32 v8, 0.5, v9
	s_delay_alu instid0(VALU_DEP_2)
	v_add_nc_u32_e32 v9, s26, v4
	s_clause 0x4
	global_store_b32 v0, v1, s[4:5] scale_offset
	global_store_b32 v3, v5, s[4:5] scale_offset
	;; [unrolled: 1-line block ×5, first 2 shown]
.LBB4_32:
	s_sendmsg sendmsg(MSG_DEALLOC_VGPRS)
	s_endpgm
	.section	.rodata,"a",@progbits
	.p2align	6, 0x0
	.amdhsa_kernel _ZL11fasten_mainILm16EEviiPK4AtomS2_PKfS4_S4_S4_S4_S4_PfPK8FFParamsi
		.amdhsa_group_segment_fixed_size 0
		.amdhsa_private_segment_fixed_size 1728
		.amdhsa_kernarg_size 352
		.amdhsa_user_sgpr_count 2
		.amdhsa_user_sgpr_dispatch_ptr 0
		.amdhsa_user_sgpr_queue_ptr 0
		.amdhsa_user_sgpr_kernarg_segment_ptr 1
		.amdhsa_user_sgpr_dispatch_id 0
		.amdhsa_user_sgpr_kernarg_preload_length 0
		.amdhsa_user_sgpr_kernarg_preload_offset 0
		.amdhsa_user_sgpr_private_segment_size 0
		.amdhsa_wavefront_size32 1
		.amdhsa_uses_dynamic_stack 0
		.amdhsa_enable_private_segment 1
		.amdhsa_system_sgpr_workgroup_id_x 1
		.amdhsa_system_sgpr_workgroup_id_y 0
		.amdhsa_system_sgpr_workgroup_id_z 0
		.amdhsa_system_sgpr_workgroup_info 0
		.amdhsa_system_vgpr_workitem_id 0
		.amdhsa_next_free_vgpr 128
		.amdhsa_next_free_sgpr 35
		.amdhsa_named_barrier_count 0
		.amdhsa_reserve_vcc 1
		.amdhsa_float_round_mode_32 0
		.amdhsa_float_round_mode_16_64 0
		.amdhsa_float_denorm_mode_32 3
		.amdhsa_float_denorm_mode_16_64 3
		.amdhsa_fp16_overflow 0
		.amdhsa_memory_ordered 1
		.amdhsa_forward_progress 1
		.amdhsa_inst_pref_size 126
		.amdhsa_round_robin_scheduling 0
		.amdhsa_exception_fp_ieee_invalid_op 0
		.amdhsa_exception_fp_denorm_src 0
		.amdhsa_exception_fp_ieee_div_zero 0
		.amdhsa_exception_fp_ieee_overflow 0
		.amdhsa_exception_fp_ieee_underflow 0
		.amdhsa_exception_fp_ieee_inexact 0
		.amdhsa_exception_int_div_zero 0
	.end_amdhsa_kernel
	.section	.text._ZL11fasten_mainILm16EEviiPK4AtomS2_PKfS4_S4_S4_S4_S4_PfPK8FFParamsi,"axG",@progbits,_ZL11fasten_mainILm16EEviiPK4AtomS2_PKfS4_S4_S4_S4_S4_PfPK8FFParamsi,comdat
.Lfunc_end4:
	.size	_ZL11fasten_mainILm16EEviiPK4AtomS2_PKfS4_S4_S4_S4_S4_PfPK8FFParamsi, .Lfunc_end4-_ZL11fasten_mainILm16EEviiPK4AtomS2_PKfS4_S4_S4_S4_S4_PfPK8FFParamsi
                                        ; -- End function
	.set _ZL11fasten_mainILm16EEviiPK4AtomS2_PKfS4_S4_S4_S4_S4_PfPK8FFParamsi.num_vgpr, 128
	.set _ZL11fasten_mainILm16EEviiPK4AtomS2_PKfS4_S4_S4_S4_S4_PfPK8FFParamsi.num_agpr, 0
	.set _ZL11fasten_mainILm16EEviiPK4AtomS2_PKfS4_S4_S4_S4_S4_PfPK8FFParamsi.numbered_sgpr, 35
	.set _ZL11fasten_mainILm16EEviiPK4AtomS2_PKfS4_S4_S4_S4_S4_PfPK8FFParamsi.num_named_barrier, 0
	.set _ZL11fasten_mainILm16EEviiPK4AtomS2_PKfS4_S4_S4_S4_S4_PfPK8FFParamsi.private_seg_size, 1728
	.set _ZL11fasten_mainILm16EEviiPK4AtomS2_PKfS4_S4_S4_S4_S4_PfPK8FFParamsi.uses_vcc, 1
	.set _ZL11fasten_mainILm16EEviiPK4AtomS2_PKfS4_S4_S4_S4_S4_PfPK8FFParamsi.uses_flat_scratch, 1
	.set _ZL11fasten_mainILm16EEviiPK4AtomS2_PKfS4_S4_S4_S4_S4_PfPK8FFParamsi.has_dyn_sized_stack, 0
	.set _ZL11fasten_mainILm16EEviiPK4AtomS2_PKfS4_S4_S4_S4_S4_PfPK8FFParamsi.has_recursion, 0
	.set _ZL11fasten_mainILm16EEviiPK4AtomS2_PKfS4_S4_S4_S4_S4_PfPK8FFParamsi.has_indirect_call, 0
	.section	.AMDGPU.csdata,"",@progbits
; Kernel info:
; codeLenInByte = 16020
; TotalNumSgprs: 37
; NumVgprs: 128
; ScratchSize: 1728
; MemoryBound: 0
; FloatMode: 240
; IeeeMode: 1
; LDSByteSize: 0 bytes/workgroup (compile time only)
; SGPRBlocks: 0
; VGPRBlocks: 7
; NumSGPRsForWavesPerEU: 37
; NumVGPRsForWavesPerEU: 128
; NamedBarCnt: 0
; Occupancy: 8
; WaveLimiterHint : 1
; COMPUTE_PGM_RSRC2:SCRATCH_EN: 1
; COMPUTE_PGM_RSRC2:USER_SGPR: 2
; COMPUTE_PGM_RSRC2:TRAP_HANDLER: 0
; COMPUTE_PGM_RSRC2:TGID_X_EN: 1
; COMPUTE_PGM_RSRC2:TGID_Y_EN: 0
; COMPUTE_PGM_RSRC2:TGID_Z_EN: 0
; COMPUTE_PGM_RSRC2:TIDIG_COMP_CNT: 0
	.section	.text._ZL11fasten_mainILm32EEviiPK4AtomS2_PKfS4_S4_S4_S4_S4_PfPK8FFParamsi,"axG",@progbits,_ZL11fasten_mainILm32EEviiPK4AtomS2_PKfS4_S4_S4_S4_S4_PfPK8FFParamsi,comdat
	.globl	_ZL11fasten_mainILm32EEviiPK4AtomS2_PKfS4_S4_S4_S4_S4_PfPK8FFParamsi ; -- Begin function _ZL11fasten_mainILm32EEviiPK4AtomS2_PKfS4_S4_S4_S4_S4_PfPK8FFParamsi
	.p2align	8
	.type	_ZL11fasten_mainILm32EEviiPK4AtomS2_PKfS4_S4_S4_S4_S4_PfPK8FFParamsi,@function
_ZL11fasten_mainILm32EEviiPK4AtomS2_PKfS4_S4_S4_S4_S4_PfPK8FFParamsi: ; @_ZL11fasten_mainILm32EEviiPK4AtomS2_PKfS4_S4_S4_S4_S4_PfPK8FFParamsi
; %bb.0:
	s_clause 0x1
	s_load_b32 s2, s[0:1], 0x6c
	s_load_b32 s3, s[0:1], 0x58
	s_bfe_u32 s4, ttmp6, 0x4000c
	s_and_b32 s5, ttmp6, 15
	s_add_co_i32 s4, s4, 1
	s_getreg_b32 s6, hwreg(HW_REG_IB_STS2, 6, 4)
	s_mul_i32 s4, ttmp9, s4
	s_load_b512 s[8:23], s[0:1], 0x8
	s_add_co_i32 s5, s5, s4
	s_mov_b32 s7, 0
	s_mov_b64 s[24:25], 0xfe5163ab
	s_mov_b32 s27, 0x7fffff
	s_mov_b32 s28, 0xb94c1982
	;; [unrolled: 1-line block ×4, first 2 shown]
	v_mov_b32_e32 v15, 0
	s_wait_kmcnt 0x0
	s_and_b32 s26, s2, 0xffff
	s_cmp_eq_u32 s6, 0
	s_cselect_b32 s2, ttmp9, s5
	s_sub_co_i32 s4, s3, 32
	s_mul_i32 s2, s2, s26
	s_mov_b32 s5, 0
	v_lshl_add_u32 v0, s2, 5, v0
	s_lshl_b32 s6, s26, 2
	s_delay_alu instid0(VALU_DEP_1) | instskip(SKIP_3) | instid1(VALU_DEP_1)
	v_cmp_gt_i32_e64 s2, s3, v0
	scratch_store_b32 off, v0, off offset:3876 ; 4-byte Folded Spill
	s_wait_xcnt 0x0
	v_cndmask_b32_e64 v0, s4, v0, s2
	v_ashrrev_i32_e32 v1, 31, v0
	s_delay_alu instid0(VALU_DEP_1)
	v_lshlrev_b64_e32 v[12:13], 2, v[0:1]
	s_branch .LBB5_2
.LBB5_1:                                ;   in Loop: Header=BB5_2 Depth=1
	s_or_b32 exec_lo, exec_lo, s3
	v_add_nc_u64_e32 v[26:27], s[18:19], v[12:13]
	v_add_nc_u64_e32 v[28:29], s[20:21], v[12:13]
	;; [unrolled: 1-line block ×3, first 2 shown]
	v_dual_mul_f32 v32, v2, v2 :: v_dual_bitop2_b32 v33, 1, v4 bitop3:0x40
	v_dual_lshlrev_b32 v4, 30, v4 :: v_dual_mul_f32 v34, v23, v23
	global_load_b32 v11, v[26:27], off
	global_load_b32 v7, v[28:29], off
	;; [unrolled: 1-line block ×3, first 2 shown]
	v_dual_mul_f32 v14, v21, v21 :: v_dual_bitop2_b32 v25, 1, v22 bitop3:0x40
	s_wait_xcnt 0x0
	v_dual_mul_f32 v30, v5, v5 :: v_dual_bitop2_b32 v31, 1, v8 bitop3:0x40
	v_fmaak_f32 v46, s28, v34, 0x3c0881c4
	s_delay_alu instid0(VALU_DEP_3) | instskip(SKIP_1) | instid1(VALU_DEP_4)
	v_fmaak_f32 v36, s28, v14, 0x3c0881c4
	v_dual_lshlrev_b32 v22, 30, v22 :: v_dual_mul_f32 v26, v17, v17
	v_fmaak_f32 v42, s28, v30, 0x3c0881c4
	s_delay_alu instid0(VALU_DEP_4) | instskip(SKIP_2) | instid1(VALU_DEP_4)
	v_fmaak_f32 v46, v34, v46, 0xbe2aaa9d
	v_fmaak_f32 v45, s29, v32, 0xbab64f3b
	v_dual_mul_f32 v28, v10, v10 :: v_dual_bitop2_b32 v27, 1, v19 bitop3:0x40
	v_fmaak_f32 v42, v30, v42, 0xbe2aaa9d
	s_delay_alu instid0(VALU_DEP_4) | instskip(SKIP_2) | instid1(VALU_DEP_4)
	v_mul_f32_e32 v46, v34, v46
	v_fmaak_f32 v36, v14, v36, 0xbe2aaa9d
	v_fmaak_f32 v45, v32, v45, 0x3d2aabf7
	v_dual_fmaak_f32 v41, s29, v28, 0xbab64f3b :: v_dual_mul_f32 v42, v30, v42
	s_delay_alu instid0(VALU_DEP_4) | instskip(NEXT) | instid1(VALU_DEP_4)
	v_fmac_f32_e32 v23, v23, v46
	v_dual_fmaak_f32 v37, s29, v14, 0xbab64f3b :: v_dual_mul_f32 v36, v14, v36
	v_fmaak_f32 v38, s28, v26, 0x3c0881c4
	s_delay_alu instid0(VALU_DEP_4) | instskip(SKIP_1) | instid1(VALU_DEP_3)
	v_dual_fmaak_f32 v44, s28, v32, 0x3c0881c4 :: v_dual_fmac_f32 v5, v5, v42
	v_fmaak_f32 v45, v32, v45, 0xbf000004
	v_dual_fmac_f32 v21, v21, v36 :: v_dual_fmaak_f32 v38, v26, v38, 0xbe2aaa9d
	v_xor_b32_e32 v1, v1, v0
	s_delay_alu instid0(VALU_DEP_4)
	v_fmaak_f32 v44, v32, v44, 0xbe2aaa9d
	v_fmaak_f32 v43, s29, v30, 0xbab64f3b
	v_cmp_eq_u32_e32 vcc_lo, 0, v25
	v_mul_f32_e32 v38, v26, v38
	v_fmaak_f32 v40, s28, v28, 0x3c0881c4
	v_mul_f32_e32 v44, v32, v44
	v_fmaak_f32 v41, v28, v41, 0x3d2aabf7
	v_fma_f32 v32, v32, v45, 1.0
	s_delay_alu instid0(VALU_DEP_4) | instskip(NEXT) | instid1(VALU_DEP_4)
	v_dual_fmac_f32 v17, v17, v38 :: v_dual_fmaak_f32 v40, v28, v40, 0xbe2aaa9d
	v_dual_fmaak_f32 v39, s29, v26, 0xbab64f3b :: v_dual_fmac_f32 v2, v2, v44
	s_delay_alu instid0(VALU_DEP_4) | instskip(SKIP_1) | instid1(VALU_DEP_4)
	v_fmaak_f32 v41, v28, v41, 0xbf000004
	v_dual_lshlrev_b32 v16, 30, v16 :: v_dual_bitop2_b32 v29, 1, v16 bitop3:0x40
	v_dual_mul_f32 v40, v28, v40 :: v_dual_fmaak_f32 v47, s29, v34, 0xbab64f3b
	s_delay_alu instid0(VALU_DEP_3) | instskip(SKIP_2) | instid1(VALU_DEP_4)
	v_fma_f32 v28, v28, v41, 1.0
	v_fmaak_f32 v39, v26, v39, 0x3d2aabf7
	v_fmaak_f32 v43, v30, v43, 0x3d2aabf7
	v_fmac_f32_e32 v10, v10, v40
	v_fmaak_f32 v37, v14, v37, 0x3d2aabf7
	v_fmaak_f32 v47, v34, v47, 0x3d2aabf7
	;; [unrolled: 1-line block ×4, first 2 shown]
	v_dual_lshlrev_b32 v24, 30, v24 :: v_dual_bitop2_b32 v35, 1, v24 bitop3:0x40
	v_fmaak_f32 v37, v14, v37, 0xbf000004
	s_delay_alu instid0(VALU_DEP_4) | instskip(NEXT) | instid1(VALU_DEP_4)
	v_fma_f32 v26, v26, v39, 1.0
	v_fma_f32 v30, v30, v43, 1.0
	v_fmaak_f32 v47, v34, v47, 0xbf000004
	v_dual_lshlrev_b32 v19, 30, v19 :: v_dual_bitop2_b32 v20, v20, v18 bitop3:0x14
	v_fma_f32 v14, v14, v37, 1.0
	v_dual_lshlrev_b32 v8, 30, v8 :: v_dual_bitop2_b32 v9, v9, v6 bitop3:0x14
	s_delay_alu instid0(VALU_DEP_4) | instskip(SKIP_1) | instid1(VALU_DEP_4)
	v_fma_f32 v34, v34, v47, 1.0
	v_and_b32_e32 v4, 0x80000000, v4
	v_cndmask_b32_e32 v14, v14, v21, vcc_lo
	v_cmp_eq_u32_e32 vcc_lo, 0, v27
	v_and_b32_e32 v22, 0x80000000, v22
	v_and_b32_e32 v16, 0x80000000, v16
	v_cmp_class_f32_e64 s3, v0, 0x1f8
	v_cmp_class_f32_e64 s4, v6, 0x1f8
	v_cndmask_b32_e64 v17, -v17, v26, vcc_lo
	v_cmp_eq_u32_e32 vcc_lo, 0, v29
	v_xor3_b32 v14, v20, v22, v14
	v_add_nc_u64_e32 v[12:13], s[6:7], v[12:13]
	s_add_co_i32 s31, s30, 0x80
	v_bitop3_b32 v17, v19, v17, 0x80000000 bitop3:0x6c
	v_cndmask_b32_e32 v10, v28, v10, vcc_lo
	v_cmp_eq_u32_e32 vcc_lo, 0, v31
	s_add_co_i32 s30, s30, 48
	scratch_store_b32 off, v15, s5
	v_cndmask_b32_e64 v6, 0x7fc00000, v17, s4
	v_xor3_b32 v9, v9, v16, v10
	v_cndmask_b32_e64 v5, -v5, v30, vcc_lo
	v_cmp_eq_u32_e32 vcc_lo, 0, v33
	s_wait_xcnt 0x0
	s_add_co_i32 s5, s5, 4
	s_cmp_lg_u32 s30, 0x600
	v_bitop3_b32 v5, v8, v5, 0x80000000 bitop3:0x6c
	v_cndmask_b32_e32 v2, v32, v2, vcc_lo
	v_cmp_eq_u32_e32 vcc_lo, 0, v35
	s_delay_alu instid0(VALU_DEP_3) | instskip(NEXT) | instid1(VALU_DEP_3)
	v_cndmask_b32_e64 v17, 0x7fc00000, v5, s3
	v_xor3_b32 v1, v1, v4, v2
	v_cndmask_b32_e64 v21, -v23, v34, vcc_lo
	v_cmp_class_f32_e64 vcc_lo, v18, 0x1f8
	s_delay_alu instid0(VALU_DEP_4) | instskip(NEXT) | instid1(VALU_DEP_4)
	v_mov_b32_e32 v18, v17
	v_cndmask_b32_e64 v16, 0x7fc00000, v1, s3
	s_delay_alu instid0(VALU_DEP_4) | instskip(NEXT) | instid1(VALU_DEP_2)
	v_bitop3_b32 v0, v24, v21, 0x80000000 bitop3:0x6c
	v_dual_cndmask_b32 v2, 0x7fc00000, v14 :: v_dual_mov_b32 v19, v16
	s_delay_alu instid0(VALU_DEP_2) | instskip(SKIP_1) | instid1(VALU_DEP_3)
	v_cndmask_b32_e32 v10, 0x7fc00000, v0, vcc_lo
	v_cndmask_b32_e64 v0, 0x7fc00000, v9, s4
	v_mul_f32_e32 v4, v6, v2
	s_delay_alu instid0(VALU_DEP_3) | instskip(NEXT) | instid1(VALU_DEP_3)
	v_mul_f32_e32 v8, v6, v10
	v_pk_mul_f32 v[20:21], v[16:17], v[0:1] op_sel_hi:[1,0]
	v_xor_b32_e32 v0, 0x80000000, v0
	s_wait_loadcnt 0x2
	v_pk_mul_f32 v[18:19], v[18:19], v[10:11] op_sel_hi:[1,0]
	s_delay_alu instid0(VALU_DEP_3) | instskip(SKIP_4) | instid1(VALU_DEP_3)
	v_pk_mul_f32 v[24:25], v[20:21], v[10:11] op_sel_hi:[1,0]
	s_wait_loadcnt 0x0
	v_pk_mul_f32 v[22:23], v[16:17], v[2:3] op_sel_hi:[1,0]
	v_pk_mul_f32 v[28:29], v[20:21], v[2:3] op_sel_hi:[1,0]
	v_pk_mul_f32 v[16:17], v[16:17], v[6:7] op_sel_hi:[1,0]
	v_pk_fma_f32 v[26:27], v[20:21], v[10:11], v[22:23] op_sel:[0,0,1] op_sel_hi:[1,0,0]
	v_pk_fma_f32 v[20:21], v[20:21], v[2:3], v[18:19] op_sel_hi:[1,0,1] neg_lo:[0,0,1] neg_hi:[0,0,1]
	v_sub_f32_e32 v9, v24, v23
	v_add_f32_e32 v5, v28, v18
	s_delay_alu instid0(VALU_DEP_4) | instskip(NEXT) | instid1(VALU_DEP_4)
	v_dual_mov_b32 v1, v16 :: v_dual_mov_b32 v10, v27
	v_dual_mov_b32 v6, v21 :: v_dual_mov_b32 v2, v17
	s_clause 0x2
	scratch_store_b128 off, v[8:11], s31
	scratch_store_b128 off, v[4:7], s31 offset:16
	scratch_store_b128 off, v[0:3], s31 offset:32
	s_cbranch_scc0 .LBB5_26
.LBB5_2:                                ; =>This Inner Loop Header: Depth=1
	s_wait_xcnt 0x0
	s_delay_alu instid0(VALU_DEP_1)
	v_add_nc_u64_e32 v[0:1], s[12:13], v[12:13]
                                        ; implicit-def: $vgpr4
	global_load_b32 v0, v[0:1], off
	s_wait_loadcnt 0x0
	s_wait_xcnt 0x0
	v_and_b32_e32 v1, 0x7fffffff, v0
	v_cmp_ngt_f32_e64 s31, 0x48000000, |v0|
	s_delay_alu instid0(VALU_DEP_2) | instskip(SKIP_1) | instid1(VALU_DEP_2)
	v_lshrrev_b32_e32 v2, 23, v1
	v_and_or_b32 v14, v1, s27, 0x800000
	v_add_nc_u32_e32 v3, 0xffffff88, v2
                                        ; implicit-def: $vgpr2
	s_and_saveexec_b32 s3, s31
	s_delay_alu instid0(SALU_CYCLE_1)
	s_xor_b32 s33, exec_lo, s3
	s_cbranch_execz .LBB5_4
; %bb.3:                                ;   in Loop: Header=BB5_2 Depth=1
	v_mul_u64_e32 v[4:5], s[24:25], v[14:15]
	v_mov_b32_e32 v7, v15
	v_cmp_lt_u32_e32 vcc_lo, 63, v3
	v_mov_b32_e32 v21, v15
	v_cndmask_b32_e64 v2, 0, 0xffffffc0, vcc_lo
	s_delay_alu instid0(VALU_DEP_1) | instskip(NEXT) | instid1(VALU_DEP_1)
	v_add_nc_u32_e32 v2, v2, v3
	v_cmp_lt_u32_e64 s3, 31, v2
	v_mov_b32_e32 v6, v5
	s_delay_alu instid0(VALU_DEP_2) | instskip(NEXT) | instid1(VALU_DEP_2)
	v_cndmask_b32_e64 v5, 0, 0xffffffe0, s3
	v_mad_nc_u64_u32 v[6:7], 0x3c439041, v14, v[6:7]
	s_delay_alu instid0(VALU_DEP_2) | instskip(NEXT) | instid1(VALU_DEP_1)
	v_dual_mov_b32 v9, v15 :: v_dual_add_nc_u32 v2, v5, v2
	v_cmp_lt_u32_e64 s4, 31, v2
	s_delay_alu instid0(VALU_DEP_3) | instskip(NEXT) | instid1(VALU_DEP_2)
	v_mov_b32_e32 v8, v7
	v_cndmask_b32_e64 v5, 0, 0xffffffe0, s4
	s_delay_alu instid0(VALU_DEP_2) | instskip(NEXT) | instid1(VALU_DEP_1)
	v_mad_nc_u64_u32 v[8:9], 0xdb629599, v14, v[8:9]
	v_dual_mov_b32 v11, v15 :: v_dual_mov_b32 v10, v9
	s_delay_alu instid0(VALU_DEP_2) | instskip(NEXT) | instid1(VALU_DEP_2)
	v_cndmask_b32_e32 v4, v8, v4, vcc_lo
	v_mad_nc_u64_u32 v[10:11], 0xf534ddc0, v14, v[10:11]
	s_delay_alu instid0(VALU_DEP_1) | instskip(NEXT) | instid1(VALU_DEP_1)
	v_dual_mov_b32 v17, v15 :: v_dual_mov_b32 v16, v11
	v_mad_nc_u64_u32 v[16:17], 0xfc2757d1, v14, v[16:17]
	s_delay_alu instid0(VALU_DEP_1) | instskip(NEXT) | instid1(VALU_DEP_1)
	v_dual_mov_b32 v19, v15 :: v_dual_mov_b32 v18, v17
	v_mad_nc_u64_u32 v[18:19], 0x4e441529, v14, v[18:19]
	s_delay_alu instid0(VALU_DEP_1) | instskip(NEXT) | instid1(VALU_DEP_1)
	v_mov_b32_e32 v20, v19
	v_mad_nc_u64_u32 v[20:21], 0xa2f9836e, v14, v[20:21]
	s_delay_alu instid0(VALU_DEP_1) | instskip(NEXT) | instid1(VALU_DEP_2)
	v_dual_cndmask_b32 v7, v18, v10, vcc_lo :: v_dual_cndmask_b32 v9, v20, v16, vcc_lo
	v_dual_cndmask_b32 v11, v21, v18 :: v_dual_cndmask_b32 v16, v16, v8
	v_add_nc_u32_e32 v2, v5, v2
	s_delay_alu instid0(VALU_DEP_3) | instskip(NEXT) | instid1(VALU_DEP_3)
	v_dual_cndmask_b32 v5, v10, v6, vcc_lo :: v_dual_cndmask_b32 v6, v9, v7, s3
	v_cndmask_b32_e64 v9, v11, v9, s3
	s_delay_alu instid0(VALU_DEP_3) | instskip(NEXT) | instid1(VALU_DEP_3)
	v_dual_cndmask_b32 v7, v7, v16, s3 :: v_dual_sub_nc_u32 v10, 32, v2
	v_cndmask_b32_e64 v11, v16, v5, s3
	v_cmp_eq_u32_e32 vcc_lo, 0, v2
	s_delay_alu instid0(VALU_DEP_3) | instskip(NEXT) | instid1(VALU_DEP_1)
	v_dual_cndmask_b32 v9, v9, v6, s4 :: v_dual_cndmask_b32 v6, v6, v7, s4
	v_alignbit_b32 v16, v9, v6, v10
	s_delay_alu instid0(VALU_DEP_1) | instskip(NEXT) | instid1(VALU_DEP_1)
	v_dual_cndmask_b32 v7, v7, v11, s4 :: v_dual_cndmask_b32 v2, v16, v9, vcc_lo
	v_alignbit_b32 v8, v6, v7, v10
	s_delay_alu instid0(VALU_DEP_1) | instskip(NEXT) | instid1(VALU_DEP_3)
	v_dual_cndmask_b32 v4, v5, v4, s3 :: v_dual_cndmask_b32 v5, v8, v6, vcc_lo
	v_bfe_u32 v6, v2, 29, 1
	s_delay_alu instid0(VALU_DEP_2) | instskip(NEXT) | instid1(VALU_DEP_3)
	v_cndmask_b32_e64 v4, v11, v4, s4
	v_alignbit_b32 v8, v2, v5, 30
	s_delay_alu instid0(VALU_DEP_3) | instskip(NEXT) | instid1(VALU_DEP_3)
	v_sub_nc_u32_e32 v9, 0, v6
	v_alignbit_b32 v10, v7, v4, v10
	s_delay_alu instid0(VALU_DEP_1) | instskip(NEXT) | instid1(VALU_DEP_1)
	v_dual_cndmask_b32 v7, v10, v7, vcc_lo :: v_dual_bitop2_b32 v8, v8, v9 bitop3:0x14
	v_clz_i32_u32_e32 v10, v8
	s_delay_alu instid0(VALU_DEP_2) | instskip(SKIP_1) | instid1(VALU_DEP_3)
	v_alignbit_b32 v5, v5, v7, 30
	v_alignbit_b32 v4, v7, v4, 30
	v_min_u32_e32 v10, 32, v10
	s_delay_alu instid0(VALU_DEP_3) | instskip(NEXT) | instid1(VALU_DEP_3)
	v_xor_b32_e32 v5, v5, v9
	v_dual_lshrrev_b32 v9, 29, v2 :: v_dual_bitop2_b32 v4, v4, v9 bitop3:0x14
	s_delay_alu instid0(VALU_DEP_3) | instskip(NEXT) | instid1(VALU_DEP_1)
	v_dual_sub_nc_u32 v7, 31, v10 :: v_dual_lshlrev_b32 v11, 23, v10
	v_alignbit_b32 v8, v8, v5, v7
	s_delay_alu instid0(VALU_DEP_3) | instskip(NEXT) | instid1(VALU_DEP_4)
	v_alignbit_b32 v4, v5, v4, v7
	v_lshlrev_b32_e32 v5, 31, v9
	s_delay_alu instid0(VALU_DEP_2) | instskip(NEXT) | instid1(VALU_DEP_2)
	v_alignbit_b32 v7, v8, v4, 9
	v_dual_lshrrev_b32 v8, 9, v8 :: v_dual_bitop2_b32 v9, 0.5, v5 bitop3:0x54
	v_or_b32_e32 v5, 0x33000000, v5
	s_delay_alu instid0(VALU_DEP_3) | instskip(NEXT) | instid1(VALU_DEP_3)
	v_clz_i32_u32_e32 v16, v7
	v_sub_nc_u32_e32 v9, v9, v11
	s_delay_alu instid0(VALU_DEP_2) | instskip(NEXT) | instid1(VALU_DEP_1)
	v_min_u32_e32 v11, 32, v16
	v_add_lshl_u32 v10, v11, v10, 23
	s_delay_alu instid0(VALU_DEP_3) | instskip(SKIP_1) | instid1(VALU_DEP_2)
	v_or_b32_e32 v8, v8, v9
	v_not_b32_e32 v9, v11
	v_dual_mul_f32 v16, 0x3fc90fda, v8 :: v_dual_sub_nc_u32 v5, v5, v10
	s_delay_alu instid0(VALU_DEP_2) | instskip(NEXT) | instid1(VALU_DEP_2)
	v_alignbit_b32 v4, v7, v4, v9
	v_fma_f32 v7, 0x3fc90fda, v8, -v16
	s_delay_alu instid0(VALU_DEP_2) | instskip(NEXT) | instid1(VALU_DEP_2)
	v_lshrrev_b32_e32 v4, 9, v4
	v_fmac_f32_e32 v7, 0x33a22168, v8
	s_delay_alu instid0(VALU_DEP_2) | instskip(NEXT) | instid1(VALU_DEP_1)
	v_or_b32_e32 v4, v5, v4
	v_dual_fmac_f32 v7, 0x3fc90fda, v4 :: v_dual_lshrrev_b32 v4, 30, v2
	s_delay_alu instid0(VALU_DEP_1)
	v_dual_add_nc_u32 v4, v6, v4 :: v_dual_add_f32 v2, v16, v7
.LBB5_4:                                ;   in Loop: Header=BB5_2 Depth=1
	s_or_saveexec_b32 s3, s33
	v_mul_f32_e64 v5, 0x3f22f983, |v0|
	s_delay_alu instid0(VALU_DEP_1)
	v_rndne_f32_e32 v6, v5
	s_xor_b32 exec_lo, exec_lo, s3
; %bb.5:                                ;   in Loop: Header=BB5_2 Depth=1
	s_delay_alu instid0(VALU_DEP_1) | instskip(SKIP_1) | instid1(VALU_DEP_2)
	v_fma_f32 v2, 0xbfc90fda, v6, |v0|
	v_cvt_i32_f32_e32 v4, v6
	v_fmac_f32_e32 v2, 0xb3a22168, v6
	s_delay_alu instid0(VALU_DEP_1)
	v_fmac_f32_e32 v2, 0xa7c234c4, v6
; %bb.6:                                ;   in Loop: Header=BB5_2 Depth=1
	s_or_b32 exec_lo, exec_lo, s3
                                        ; implicit-def: $vgpr8
                                        ; implicit-def: $vgpr5
	s_and_saveexec_b32 s3, s31
	s_delay_alu instid0(SALU_CYCLE_1)
	s_xor_b32 s31, exec_lo, s3
	s_cbranch_execz .LBB5_8
; %bb.7:                                ;   in Loop: Header=BB5_2 Depth=1
	v_mul_u64_e32 v[6:7], s[24:25], v[14:15]
	v_mov_b32_e32 v9, v15
	v_cmp_lt_u32_e32 vcc_lo, 63, v3
	v_mov_b32_e32 v23, v15
	v_cndmask_b32_e64 v5, 0, 0xffffffc0, vcc_lo
	s_delay_alu instid0(VALU_DEP_1) | instskip(NEXT) | instid1(VALU_DEP_1)
	v_add_nc_u32_e32 v3, v5, v3
	v_cmp_lt_u32_e64 s3, 31, v3
	s_delay_alu instid0(VALU_DEP_1) | instskip(SKIP_1) | instid1(VALU_DEP_1)
	v_cndmask_b32_e64 v5, 0, 0xffffffe0, s3
	v_mov_b32_e32 v8, v7
	v_mad_nc_u64_u32 v[8:9], 0x3c439041, v14, v[8:9]
	s_delay_alu instid0(VALU_DEP_1) | instskip(NEXT) | instid1(VALU_DEP_1)
	v_dual_mov_b32 v11, v15 :: v_dual_mov_b32 v10, v9
	v_mad_nc_u64_u32 v[10:11], 0xdb629599, v14, v[10:11]
	s_delay_alu instid0(VALU_DEP_1) | instskip(NEXT) | instid1(VALU_DEP_1)
	v_dual_mov_b32 v17, v15 :: v_dual_mov_b32 v16, v11
	;; [unrolled: 3-line block ×4, first 2 shown]
	v_mad_nc_u64_u32 v[20:21], 0x4e441529, v14, v[20:21]
	s_delay_alu instid0(VALU_DEP_1) | instskip(NEXT) | instid1(VALU_DEP_1)
	v_dual_mov_b32 v22, v21 :: v_dual_cndmask_b32 v7, v20, v16
	v_mad_nc_u64_u32 v[22:23], 0xa2f9836e, v14, v[22:23]
	v_dual_cndmask_b32 v14, v18, v10 :: v_dual_add_nc_u32 v3, v5, v3
	s_delay_alu instid0(VALU_DEP_2) | instskip(NEXT) | instid1(VALU_DEP_2)
	v_dual_cndmask_b32 v11, v23, v20, vcc_lo :: v_dual_cndmask_b32 v9, v22, v18, vcc_lo
	v_cmp_lt_u32_e64 s4, 31, v3
	s_delay_alu instid0(VALU_DEP_1) | instskip(NEXT) | instid1(VALU_DEP_1)
	v_cndmask_b32_e64 v5, 0, 0xffffffe0, s4
	v_dual_add_nc_u32 v3, v5, v3 :: v_dual_cndmask_b32 v5, v16, v8, vcc_lo
	s_delay_alu instid0(VALU_DEP_4) | instskip(NEXT) | instid1(VALU_DEP_2)
	v_dual_cndmask_b32 v8, v9, v7, s3 :: v_dual_cndmask_b32 v9, v11, v9, s3
	v_dual_cndmask_b32 v7, v7, v14, s3 :: v_dual_sub_nc_u32 v11, 32, v3
	s_delay_alu instid0(VALU_DEP_2) | instskip(NEXT) | instid1(VALU_DEP_1)
	v_dual_cndmask_b32 v14, v14, v5, s3 :: v_dual_cndmask_b32 v9, v9, v8, s4
	v_dual_cndmask_b32 v8, v8, v7, s4 :: v_dual_cndmask_b32 v7, v7, v14, s4
	s_delay_alu instid0(VALU_DEP_1) | instskip(SKIP_2) | instid1(VALU_DEP_4)
	v_alignbit_b32 v16, v9, v8, v11
	v_cndmask_b32_e32 v6, v10, v6, vcc_lo
	v_cmp_eq_u32_e32 vcc_lo, 0, v3
	v_alignbit_b32 v10, v8, v7, v11
	s_delay_alu instid0(VALU_DEP_3) | instskip(NEXT) | instid1(VALU_DEP_2)
	v_dual_cndmask_b32 v3, v16, v9, vcc_lo :: v_dual_cndmask_b32 v5, v5, v6, s3
	v_cndmask_b32_e32 v6, v10, v8, vcc_lo
	s_delay_alu instid0(VALU_DEP_2) | instskip(NEXT) | instid1(VALU_DEP_3)
	v_bfe_u32 v8, v3, 29, 1
	v_cndmask_b32_e64 v5, v14, v5, s4
	s_delay_alu instid0(VALU_DEP_3) | instskip(NEXT) | instid1(VALU_DEP_3)
	v_alignbit_b32 v9, v3, v6, 30
	v_sub_nc_u32_e32 v10, 0, v8
	s_delay_alu instid0(VALU_DEP_3) | instskip(NEXT) | instid1(VALU_DEP_1)
	v_alignbit_b32 v11, v7, v5, v11
	v_dual_cndmask_b32 v7, v11, v7, vcc_lo :: v_dual_bitop2_b32 v9, v9, v10 bitop3:0x14
	s_delay_alu instid0(VALU_DEP_1) | instskip(NEXT) | instid1(VALU_DEP_2)
	v_clz_i32_u32_e32 v11, v9
	v_alignbit_b32 v6, v6, v7, 30
	v_alignbit_b32 v5, v7, v5, 30
	s_delay_alu instid0(VALU_DEP_3) | instskip(NEXT) | instid1(VALU_DEP_3)
	v_min_u32_e32 v11, 32, v11
	v_xor_b32_e32 v6, v6, v10
	s_delay_alu instid0(VALU_DEP_3) | instskip(SKIP_1) | instid1(VALU_DEP_4)
	v_dual_lshrrev_b32 v10, 29, v3 :: v_dual_bitop2_b32 v5, v5, v10 bitop3:0x14
	v_lshrrev_b32_e32 v3, 30, v3
	v_dual_sub_nc_u32 v7, 31, v11 :: v_dual_lshlrev_b32 v14, 23, v11
	s_delay_alu instid0(VALU_DEP_2) | instskip(NEXT) | instid1(VALU_DEP_2)
	v_add_nc_u32_e32 v8, v8, v3
	v_alignbit_b32 v9, v9, v6, v7
	v_alignbit_b32 v5, v6, v5, v7
	v_lshlrev_b32_e32 v6, 31, v10
	s_delay_alu instid0(VALU_DEP_2) | instskip(NEXT) | instid1(VALU_DEP_2)
	v_alignbit_b32 v7, v9, v5, 9
	v_dual_lshrrev_b32 v9, 9, v9 :: v_dual_bitop2_b32 v10, 0.5, v6 bitop3:0x54
	v_or_b32_e32 v6, 0x33000000, v6
	s_delay_alu instid0(VALU_DEP_3) | instskip(NEXT) | instid1(VALU_DEP_3)
	v_clz_i32_u32_e32 v16, v7
	v_sub_nc_u32_e32 v10, v10, v14
	s_delay_alu instid0(VALU_DEP_2) | instskip(NEXT) | instid1(VALU_DEP_1)
	v_min_u32_e32 v14, 32, v16
	v_add_lshl_u32 v11, v14, v11, 23
	s_delay_alu instid0(VALU_DEP_3) | instskip(SKIP_1) | instid1(VALU_DEP_3)
	v_or_b32_e32 v9, v9, v10
	v_not_b32_e32 v10, v14
	v_sub_nc_u32_e32 v6, v6, v11
	s_delay_alu instid0(VALU_DEP_3) | instskip(NEXT) | instid1(VALU_DEP_3)
	v_mul_f32_e32 v16, 0x3fc90fda, v9
	v_alignbit_b32 v5, v7, v5, v10
	s_delay_alu instid0(VALU_DEP_2) | instskip(NEXT) | instid1(VALU_DEP_2)
	v_fma_f32 v7, 0x3fc90fda, v9, -v16
	v_lshrrev_b32_e32 v5, 9, v5
	s_delay_alu instid0(VALU_DEP_2) | instskip(NEXT) | instid1(VALU_DEP_2)
	v_fmac_f32_e32 v7, 0x33a22168, v9
	v_or_b32_e32 v5, v6, v5
                                        ; implicit-def: $vgpr6
	s_delay_alu instid0(VALU_DEP_1) | instskip(NEXT) | instid1(VALU_DEP_1)
	v_fmac_f32_e32 v7, 0x3fc90fda, v5
	v_add_f32_e32 v5, v16, v7
	s_and_not1_saveexec_b32 s3, s31
	s_cbranch_execnz .LBB5_9
	s_branch .LBB5_10
.LBB5_8:                                ;   in Loop: Header=BB5_2 Depth=1
	s_and_not1_saveexec_b32 s3, s31
.LBB5_9:                                ;   in Loop: Header=BB5_2 Depth=1
	v_fma_f32 v5, 0xbfc90fda, v6, |v0|
	v_cvt_i32_f32_e32 v8, v6
	s_delay_alu instid0(VALU_DEP_2) | instskip(NEXT) | instid1(VALU_DEP_1)
	v_fmac_f32_e32 v5, 0xb3a22168, v6
	v_fmac_f32_e32 v5, 0xa7c234c4, v6
.LBB5_10:                               ;   in Loop: Header=BB5_2 Depth=1
	s_or_b32 exec_lo, exec_lo, s3
	v_add_nc_u64_e32 v[6:7], s[14:15], v[12:13]
                                        ; implicit-def: $vgpr16
                                        ; implicit-def: $vgpr10
	global_load_b32 v6, v[6:7], off
	s_wait_loadcnt 0x0
	v_and_b32_e32 v9, 0x7fffffff, v6
	v_cmp_ngt_f32_e64 s31, 0x48000000, |v6|
	s_delay_alu instid0(VALU_DEP_2) | instskip(SKIP_1) | instid1(VALU_DEP_2)
	v_lshrrev_b32_e32 v3, 23, v9
	v_and_or_b32 v14, v9, s27, 0x800000
	v_add_nc_u32_e32 v3, 0xffffff88, v3
	s_wait_xcnt 0x0
	s_and_saveexec_b32 s3, s31
	s_delay_alu instid0(SALU_CYCLE_1)
	s_xor_b32 s33, exec_lo, s3
	s_cbranch_execz .LBB5_12
; %bb.11:                               ;   in Loop: Header=BB5_2 Depth=1
	v_mul_u64_e32 v[10:11], s[24:25], v[14:15]
	v_mov_b32_e32 v17, v15
	v_cmp_lt_u32_e32 vcc_lo, 63, v3
	v_cndmask_b32_e64 v7, 0, 0xffffffc0, vcc_lo
	s_delay_alu instid0(VALU_DEP_4) | instskip(NEXT) | instid1(VALU_DEP_1)
	v_mov_b32_e32 v16, v11
	v_mad_nc_u64_u32 v[16:17], 0x3c439041, v14, v[16:17]
	s_delay_alu instid0(VALU_DEP_1) | instskip(NEXT) | instid1(VALU_DEP_1)
	v_dual_mov_b32 v19, v15 :: v_dual_mov_b32 v18, v17
	v_mad_nc_u64_u32 v[18:19], 0xdb629599, v14, v[18:19]
	s_delay_alu instid0(VALU_DEP_1) | instskip(NEXT) | instid1(VALU_DEP_2)
	v_dual_mov_b32 v21, v15 :: v_dual_mov_b32 v20, v19
	v_cndmask_b32_e32 v10, v18, v10, vcc_lo
	s_delay_alu instid0(VALU_DEP_2) | instskip(NEXT) | instid1(VALU_DEP_1)
	v_mad_nc_u64_u32 v[20:21], 0xf534ddc0, v14, v[20:21]
	v_dual_mov_b32 v23, v15 :: v_dual_mov_b32 v22, v21
	s_delay_alu instid0(VALU_DEP_1) | instskip(NEXT) | instid1(VALU_DEP_1)
	v_mad_nc_u64_u32 v[22:23], 0xfc2757d1, v14, v[22:23]
	v_dual_mov_b32 v25, v15 :: v_dual_mov_b32 v24, v23
	s_delay_alu instid0(VALU_DEP_1) | instskip(SKIP_1) | instid1(VALU_DEP_2)
	v_mad_nc_u64_u32 v[24:25], 0x4e441529, v14, v[24:25]
	v_add_nc_u32_e32 v7, v7, v3
	v_dual_mov_b32 v27, v15 :: v_dual_cndmask_b32 v17, v24, v20, vcc_lo
	s_delay_alu instid0(VALU_DEP_3) | instskip(NEXT) | instid1(VALU_DEP_3)
	v_mov_b32_e32 v26, v25
	v_cmp_lt_u32_e64 s3, 31, v7
	s_delay_alu instid0(VALU_DEP_2) | instskip(NEXT) | instid1(VALU_DEP_2)
	v_mad_nc_u64_u32 v[26:27], 0xa2f9836e, v14, v[26:27]
	v_cndmask_b32_e64 v11, 0, 0xffffffe0, s3
	s_delay_alu instid0(VALU_DEP_1) | instskip(NEXT) | instid1(VALU_DEP_1)
	v_dual_add_nc_u32 v7, v11, v7 :: v_dual_cndmask_b32 v19, v26, v22, vcc_lo
	v_cmp_lt_u32_e64 s4, 31, v7
	s_delay_alu instid0(VALU_DEP_4) | instskip(NEXT) | instid1(VALU_DEP_2)
	v_dual_cndmask_b32 v21, v27, v24 :: v_dual_cndmask_b32 v22, v22, v18
	v_cndmask_b32_e64 v11, 0, 0xffffffe0, s4
	s_delay_alu instid0(VALU_DEP_1) | instskip(NEXT) | instid1(VALU_DEP_3)
	v_dual_add_nc_u32 v7, v11, v7 :: v_dual_cndmask_b32 v11, v20, v16, vcc_lo
	v_dual_cndmask_b32 v16, v19, v17, s3 :: v_dual_cndmask_b32 v19, v21, v19, s3
	s_delay_alu instid0(VALU_DEP_2) | instskip(NEXT) | instid1(VALU_DEP_3)
	v_dual_cndmask_b32 v17, v17, v22, s3 :: v_dual_sub_nc_u32 v20, 32, v7
	v_cndmask_b32_e64 v21, v22, v11, s3
	v_cmp_eq_u32_e32 vcc_lo, 0, v7
	s_delay_alu instid0(VALU_DEP_3) | instskip(NEXT) | instid1(VALU_DEP_1)
	v_dual_cndmask_b32 v19, v19, v16, s4 :: v_dual_cndmask_b32 v16, v16, v17, s4
	v_alignbit_b32 v22, v19, v16, v20
	s_delay_alu instid0(VALU_DEP_1) | instskip(NEXT) | instid1(VALU_DEP_1)
	v_dual_cndmask_b32 v17, v17, v21, s4 :: v_dual_cndmask_b32 v7, v22, v19, vcc_lo
	v_alignbit_b32 v18, v16, v17, v20
	s_delay_alu instid0(VALU_DEP_1) | instskip(NEXT) | instid1(VALU_DEP_3)
	v_dual_cndmask_b32 v10, v11, v10, s3 :: v_dual_cndmask_b32 v11, v18, v16, vcc_lo
	v_bfe_u32 v16, v7, 29, 1
	s_delay_alu instid0(VALU_DEP_2) | instskip(NEXT) | instid1(VALU_DEP_3)
	v_cndmask_b32_e64 v10, v21, v10, s4
	v_alignbit_b32 v18, v7, v11, 30
	s_delay_alu instid0(VALU_DEP_3) | instskip(NEXT) | instid1(VALU_DEP_3)
	v_sub_nc_u32_e32 v19, 0, v16
	v_alignbit_b32 v20, v17, v10, v20
	s_delay_alu instid0(VALU_DEP_1) | instskip(NEXT) | instid1(VALU_DEP_1)
	v_dual_cndmask_b32 v17, v20, v17, vcc_lo :: v_dual_bitop2_b32 v18, v18, v19 bitop3:0x14
	v_clz_i32_u32_e32 v20, v18
	s_delay_alu instid0(VALU_DEP_2) | instskip(SKIP_1) | instid1(VALU_DEP_3)
	v_alignbit_b32 v11, v11, v17, 30
	v_alignbit_b32 v10, v17, v10, 30
	v_min_u32_e32 v20, 32, v20
	s_delay_alu instid0(VALU_DEP_3) | instskip(NEXT) | instid1(VALU_DEP_3)
	v_xor_b32_e32 v11, v11, v19
	v_xor_b32_e32 v10, v10, v19
	v_dual_lshrrev_b32 v19, 29, v7 :: v_dual_lshrrev_b32 v7, 30, v7
	s_delay_alu instid0(VALU_DEP_4) | instskip(NEXT) | instid1(VALU_DEP_2)
	v_dual_sub_nc_u32 v17, 31, v20 :: v_dual_lshlrev_b32 v21, 23, v20
	v_add_nc_u32_e32 v16, v16, v7
	s_delay_alu instid0(VALU_DEP_2) | instskip(SKIP_2) | instid1(VALU_DEP_2)
	v_alignbit_b32 v18, v18, v11, v17
	v_alignbit_b32 v10, v11, v10, v17
	v_lshlrev_b32_e32 v11, 31, v19
	v_alignbit_b32 v17, v18, v10, 9
	s_delay_alu instid0(VALU_DEP_2) | instskip(SKIP_1) | instid1(VALU_DEP_3)
	v_dual_lshrrev_b32 v18, 9, v18 :: v_dual_bitop2_b32 v19, 0.5, v11 bitop3:0x54
	v_or_b32_e32 v11, 0x33000000, v11
	v_clz_i32_u32_e32 v22, v17
	s_delay_alu instid0(VALU_DEP_3) | instskip(NEXT) | instid1(VALU_DEP_2)
	v_sub_nc_u32_e32 v19, v19, v21
	v_min_u32_e32 v21, 32, v22
	s_delay_alu instid0(VALU_DEP_1) | instskip(NEXT) | instid1(VALU_DEP_3)
	v_add_lshl_u32 v20, v21, v20, 23
	v_or_b32_e32 v18, v18, v19
	v_not_b32_e32 v19, v21
	s_delay_alu instid0(VALU_DEP_2) | instskip(NEXT) | instid1(VALU_DEP_2)
	v_dual_mul_f32 v22, 0x3fc90fda, v18 :: v_dual_sub_nc_u32 v11, v11, v20
	v_alignbit_b32 v10, v17, v10, v19
	s_delay_alu instid0(VALU_DEP_2) | instskip(NEXT) | instid1(VALU_DEP_2)
	v_fma_f32 v17, 0x3fc90fda, v18, -v22
	v_lshrrev_b32_e32 v10, 9, v10
	s_delay_alu instid0(VALU_DEP_2) | instskip(NEXT) | instid1(VALU_DEP_2)
	v_fmac_f32_e32 v17, 0x33a22168, v18
	v_or_b32_e32 v10, v11, v10
	s_delay_alu instid0(VALU_DEP_1) | instskip(NEXT) | instid1(VALU_DEP_1)
	v_fmac_f32_e32 v17, 0x3fc90fda, v10
	v_add_f32_e32 v10, v22, v17
.LBB5_12:                               ;   in Loop: Header=BB5_2 Depth=1
	s_or_saveexec_b32 s3, s33
	v_mul_f32_e64 v7, 0x3f22f983, |v6|
	s_delay_alu instid0(VALU_DEP_1)
	v_rndne_f32_e32 v7, v7
	s_xor_b32 exec_lo, exec_lo, s3
; %bb.13:                               ;   in Loop: Header=BB5_2 Depth=1
	s_delay_alu instid0(VALU_DEP_1) | instskip(SKIP_1) | instid1(VALU_DEP_2)
	v_fma_f32 v10, 0xbfc90fda, v7, |v6|
	v_cvt_i32_f32_e32 v16, v7
	v_fmac_f32_e32 v10, 0xb3a22168, v7
	s_delay_alu instid0(VALU_DEP_1)
	v_fmac_f32_e32 v10, 0xa7c234c4, v7
; %bb.14:                               ;   in Loop: Header=BB5_2 Depth=1
	s_or_b32 exec_lo, exec_lo, s3
                                        ; implicit-def: $vgpr19
                                        ; implicit-def: $vgpr17
	s_and_saveexec_b32 s3, s31
	s_delay_alu instid0(SALU_CYCLE_1)
	s_xor_b32 s31, exec_lo, s3
	s_cbranch_execz .LBB5_16
; %bb.15:                               ;   in Loop: Header=BB5_2 Depth=1
	v_mul_u64_e32 v[18:19], s[24:25], v[14:15]
	v_mov_b32_e32 v21, v15
	v_cmp_lt_u32_e32 vcc_lo, 63, v3
	v_cndmask_b32_e64 v7, 0, 0xffffffc0, vcc_lo
	s_delay_alu instid0(VALU_DEP_4) | instskip(NEXT) | instid1(VALU_DEP_1)
	v_mov_b32_e32 v20, v19
	v_mad_nc_u64_u32 v[20:21], 0x3c439041, v14, v[20:21]
	s_delay_alu instid0(VALU_DEP_1) | instskip(NEXT) | instid1(VALU_DEP_1)
	v_dual_mov_b32 v23, v15 :: v_dual_mov_b32 v22, v21
	v_mad_nc_u64_u32 v[22:23], 0xdb629599, v14, v[22:23]
	s_delay_alu instid0(VALU_DEP_1) | instskip(NEXT) | instid1(VALU_DEP_2)
	v_dual_mov_b32 v25, v15 :: v_dual_mov_b32 v24, v23
	v_cndmask_b32_e32 v18, v22, v18, vcc_lo
	s_delay_alu instid0(VALU_DEP_2) | instskip(NEXT) | instid1(VALU_DEP_1)
	v_mad_nc_u64_u32 v[24:25], 0xf534ddc0, v14, v[24:25]
	v_dual_mov_b32 v27, v15 :: v_dual_mov_b32 v26, v25
	s_delay_alu instid0(VALU_DEP_1) | instskip(NEXT) | instid1(VALU_DEP_1)
	v_mad_nc_u64_u32 v[26:27], 0xfc2757d1, v14, v[26:27]
	v_dual_mov_b32 v29, v15 :: v_dual_mov_b32 v28, v27
	s_delay_alu instid0(VALU_DEP_2) | instskip(NEXT) | instid1(VALU_DEP_2)
	v_cndmask_b32_e32 v19, v26, v22, vcc_lo
	v_mad_nc_u64_u32 v[28:29], 0x4e441529, v14, v[28:29]
	v_add_nc_u32_e32 v3, v7, v3
	s_delay_alu instid0(VALU_DEP_2) | instskip(NEXT) | instid1(VALU_DEP_3)
	v_dual_mov_b32 v31, v15 :: v_dual_cndmask_b32 v11, v28, v24, vcc_lo
	v_mov_b32_e32 v30, v29
	s_delay_alu instid0(VALU_DEP_3) | instskip(NEXT) | instid1(VALU_DEP_2)
	v_cmp_lt_u32_e64 s3, 31, v3
	v_mad_nc_u64_u32 v[30:31], 0xa2f9836e, v14, v[30:31]
	s_delay_alu instid0(VALU_DEP_2) | instskip(NEXT) | instid1(VALU_DEP_1)
	v_cndmask_b32_e64 v7, 0, 0xffffffe0, s3
	v_dual_cndmask_b32 v14, v30, v26 :: v_dual_add_nc_u32 v3, v7, v3
	s_delay_alu instid0(VALU_DEP_1) | instskip(NEXT) | instid1(VALU_DEP_4)
	v_cmp_lt_u32_e64 s4, 31, v3
	v_cndmask_b32_e32 v17, v31, v28, vcc_lo
	s_delay_alu instid0(VALU_DEP_2) | instskip(NEXT) | instid1(VALU_DEP_1)
	v_cndmask_b32_e64 v7, 0, 0xffffffe0, s4
	v_dual_add_nc_u32 v3, v7, v3 :: v_dual_cndmask_b32 v7, v24, v20, vcc_lo
	s_delay_alu instid0(VALU_DEP_3) | instskip(SKIP_1) | instid1(VALU_DEP_3)
	v_dual_cndmask_b32 v20, v14, v11, s3 :: v_dual_cndmask_b32 v14, v17, v14, s3
	v_cndmask_b32_e64 v11, v11, v19, s3
	v_sub_nc_u32_e32 v17, 32, v3
	v_cmp_eq_u32_e32 vcc_lo, 0, v3
	s_delay_alu instid0(VALU_DEP_3) | instskip(NEXT) | instid1(VALU_DEP_1)
	v_dual_cndmask_b32 v14, v14, v20, s4 :: v_dual_cndmask_b32 v20, v20, v11, s4
	v_alignbit_b32 v21, v14, v20, v17
	v_cndmask_b32_e64 v19, v19, v7, s3
	v_cndmask_b32_e64 v7, v7, v18, s3
	s_delay_alu instid0(VALU_DEP_2) | instskip(NEXT) | instid1(VALU_DEP_1)
	v_dual_cndmask_b32 v3, v21, v14, vcc_lo :: v_dual_cndmask_b32 v11, v11, v19, s4
	v_bfe_u32 v18, v3, 29, 1
	s_delay_alu instid0(VALU_DEP_2) | instskip(NEXT) | instid1(VALU_DEP_1)
	v_alignbit_b32 v22, v20, v11, v17
	v_dual_cndmask_b32 v7, v19, v7, s4 :: v_dual_cndmask_b32 v14, v22, v20, vcc_lo
	s_delay_alu instid0(VALU_DEP_3) | instskip(NEXT) | instid1(VALU_DEP_2)
	v_sub_nc_u32_e32 v20, 0, v18
	v_alignbit_b32 v17, v11, v7, v17
	s_delay_alu instid0(VALU_DEP_3) | instskip(NEXT) | instid1(VALU_DEP_1)
	v_alignbit_b32 v19, v3, v14, 30
	v_dual_cndmask_b32 v11, v17, v11, vcc_lo :: v_dual_bitop2_b32 v19, v19, v20 bitop3:0x14
	s_delay_alu instid0(VALU_DEP_1) | instskip(SKIP_1) | instid1(VALU_DEP_3)
	v_alignbit_b32 v14, v14, v11, 30
	v_alignbit_b32 v7, v11, v7, 30
	v_clz_i32_u32_e32 v17, v19
	s_delay_alu instid0(VALU_DEP_2) | instskip(NEXT) | instid1(VALU_DEP_2)
	v_xor_b32_e32 v7, v7, v20
	v_min_u32_e32 v17, 32, v17
	v_dual_lshrrev_b32 v20, 29, v3 :: v_dual_bitop2_b32 v11, v14, v20 bitop3:0x14
	s_delay_alu instid0(VALU_DEP_2) | instskip(SKIP_1) | instid1(VALU_DEP_2)
	v_dual_lshrrev_b32 v3, 30, v3 :: v_dual_sub_nc_u32 v14, 31, v17
	v_lshlrev_b32_e32 v21, 23, v17
	v_alignbit_b32 v19, v19, v11, v14
	v_alignbit_b32 v7, v11, v7, v14
	v_lshlrev_b32_e32 v11, 31, v20
	s_delay_alu instid0(VALU_DEP_2) | instskip(NEXT) | instid1(VALU_DEP_2)
	v_alignbit_b32 v14, v19, v7, 9
	v_or_b32_e32 v20, 0.5, v11
	v_lshrrev_b32_e32 v19, 9, v19
	v_or_b32_e32 v11, 0x33000000, v11
	s_delay_alu instid0(VALU_DEP_4) | instskip(NEXT) | instid1(VALU_DEP_4)
	v_clz_i32_u32_e32 v22, v14
	v_sub_nc_u32_e32 v20, v20, v21
	s_delay_alu instid0(VALU_DEP_2) | instskip(NEXT) | instid1(VALU_DEP_2)
	v_min_u32_e32 v21, 32, v22
	v_or_b32_e32 v19, v19, v20
	s_delay_alu instid0(VALU_DEP_2) | instskip(SKIP_1) | instid1(VALU_DEP_2)
	v_not_b32_e32 v20, v21
	v_add_lshl_u32 v17, v21, v17, 23
	v_alignbit_b32 v7, v14, v7, v20
	s_delay_alu instid0(VALU_DEP_1) | instskip(SKIP_1) | instid1(VALU_DEP_2)
	v_dual_sub_nc_u32 v11, v11, v17 :: v_dual_lshrrev_b32 v7, 9, v7
	v_mul_f32_e32 v22, 0x3fc90fda, v19
	v_or_b32_e32 v7, v11, v7
	s_delay_alu instid0(VALU_DEP_2) | instskip(NEXT) | instid1(VALU_DEP_1)
	v_fma_f32 v14, 0x3fc90fda, v19, -v22
	v_fmac_f32_e32 v14, 0x33a22168, v19
	v_add_nc_u32_e32 v19, v18, v3
	s_delay_alu instid0(VALU_DEP_2) | instskip(NEXT) | instid1(VALU_DEP_1)
	v_fmac_f32_e32 v14, 0x3fc90fda, v7
                                        ; implicit-def: $vgpr7
	v_add_f32_e32 v17, v22, v14
	s_and_not1_saveexec_b32 s3, s31
	s_cbranch_execnz .LBB5_17
	s_branch .LBB5_18
.LBB5_16:                               ;   in Loop: Header=BB5_2 Depth=1
	s_and_not1_saveexec_b32 s3, s31
.LBB5_17:                               ;   in Loop: Header=BB5_2 Depth=1
	v_fma_f32 v17, 0xbfc90fda, v7, |v6|
	v_cvt_i32_f32_e32 v19, v7
	s_delay_alu instid0(VALU_DEP_2) | instskip(NEXT) | instid1(VALU_DEP_1)
	v_fmac_f32_e32 v17, 0xb3a22168, v7
	v_fmac_f32_e32 v17, 0xa7c234c4, v7
.LBB5_18:                               ;   in Loop: Header=BB5_2 Depth=1
	s_or_b32 exec_lo, exec_lo, s3
	v_add_nc_u64_e32 v[20:21], s[16:17], v[12:13]
                                        ; implicit-def: $vgpr22
	global_load_b32 v18, v[20:21], off
                                        ; implicit-def: $vgpr21
	s_wait_loadcnt 0x0
	v_and_b32_e32 v20, 0x7fffffff, v18
	v_cmp_ngt_f32_e64 s31, 0x48000000, |v18|
	s_delay_alu instid0(VALU_DEP_2) | instskip(SKIP_1) | instid1(VALU_DEP_2)
	v_lshrrev_b32_e32 v3, 23, v20
	v_and_or_b32 v14, v20, s27, 0x800000
	v_add_nc_u32_e32 v3, 0xffffff88, v3
	s_and_saveexec_b32 s3, s31
	s_delay_alu instid0(SALU_CYCLE_1)
	s_xor_b32 s33, exec_lo, s3
	s_cbranch_execz .LBB5_20
; %bb.19:                               ;   in Loop: Header=BB5_2 Depth=1
	v_mul_u64_e32 v[22:23], s[24:25], v[14:15]
	v_mov_b32_e32 v25, v15
	v_cmp_lt_u32_e32 vcc_lo, 63, v3
	v_cndmask_b32_e64 v7, 0, 0xffffffc0, vcc_lo
	s_delay_alu instid0(VALU_DEP_4) | instskip(NEXT) | instid1(VALU_DEP_1)
	v_mov_b32_e32 v24, v23
	v_mad_nc_u64_u32 v[24:25], 0x3c439041, v14, v[24:25]
	s_delay_alu instid0(VALU_DEP_1) | instskip(NEXT) | instid1(VALU_DEP_1)
	v_dual_mov_b32 v27, v15 :: v_dual_mov_b32 v26, v25
	v_mad_nc_u64_u32 v[26:27], 0xdb629599, v14, v[26:27]
	s_delay_alu instid0(VALU_DEP_1) | instskip(NEXT) | instid1(VALU_DEP_2)
	v_dual_mov_b32 v29, v15 :: v_dual_mov_b32 v28, v27
	v_cndmask_b32_e32 v22, v26, v22, vcc_lo
	s_delay_alu instid0(VALU_DEP_2) | instskip(NEXT) | instid1(VALU_DEP_1)
	v_mad_nc_u64_u32 v[28:29], 0xf534ddc0, v14, v[28:29]
	v_dual_mov_b32 v31, v15 :: v_dual_mov_b32 v30, v29
	s_delay_alu instid0(VALU_DEP_1) | instskip(NEXT) | instid1(VALU_DEP_1)
	v_mad_nc_u64_u32 v[30:31], 0xfc2757d1, v14, v[30:31]
	v_dual_mov_b32 v33, v15 :: v_dual_mov_b32 v32, v31
	s_delay_alu instid0(VALU_DEP_2) | instskip(NEXT) | instid1(VALU_DEP_2)
	v_cndmask_b32_e32 v27, v30, v26, vcc_lo
	v_mad_nc_u64_u32 v[32:33], 0x4e441529, v14, v[32:33]
	v_add_nc_u32_e32 v7, v7, v3
	s_delay_alu instid0(VALU_DEP_2) | instskip(NEXT) | instid1(VALU_DEP_3)
	v_dual_mov_b32 v35, v15 :: v_dual_cndmask_b32 v21, v32, v28, vcc_lo
	v_mov_b32_e32 v34, v33
	s_delay_alu instid0(VALU_DEP_3) | instskip(NEXT) | instid1(VALU_DEP_2)
	v_cmp_lt_u32_e64 s3, 31, v7
	v_mad_nc_u64_u32 v[34:35], 0xa2f9836e, v14, v[34:35]
	s_delay_alu instid0(VALU_DEP_2) | instskip(NEXT) | instid1(VALU_DEP_1)
	v_cndmask_b32_e64 v11, 0, 0xffffffe0, s3
	v_dual_add_nc_u32 v7, v11, v7 :: v_dual_cndmask_b32 v23, v34, v30, vcc_lo
	s_delay_alu instid0(VALU_DEP_1) | instskip(NEXT) | instid1(VALU_DEP_4)
	v_cmp_lt_u32_e64 s4, 31, v7
	v_cndmask_b32_e32 v25, v35, v32, vcc_lo
	s_delay_alu instid0(VALU_DEP_2) | instskip(NEXT) | instid1(VALU_DEP_1)
	v_cndmask_b32_e64 v11, 0, 0xffffffe0, s4
	v_dual_add_nc_u32 v7, v11, v7 :: v_dual_cndmask_b32 v11, v28, v24, vcc_lo
	s_delay_alu instid0(VALU_DEP_3) | instskip(SKIP_1) | instid1(VALU_DEP_3)
	v_dual_cndmask_b32 v24, v23, v21, s3 :: v_dual_cndmask_b32 v23, v25, v23, s3
	v_cndmask_b32_e64 v21, v21, v27, s3
	v_sub_nc_u32_e32 v25, 32, v7
	s_delay_alu instid0(VALU_DEP_4) | instskip(SKIP_1) | instid1(VALU_DEP_4)
	v_cndmask_b32_e64 v27, v27, v11, s3
	v_cmp_eq_u32_e32 vcc_lo, 0, v7
	v_dual_cndmask_b32 v23, v23, v24, s4 :: v_dual_cndmask_b32 v24, v24, v21, s4
	s_delay_alu instid0(VALU_DEP_3) | instskip(NEXT) | instid1(VALU_DEP_2)
	v_dual_cndmask_b32 v11, v11, v22, s3 :: v_dual_cndmask_b32 v21, v21, v27, s4
	v_alignbit_b32 v28, v23, v24, v25
	s_delay_alu instid0(VALU_DEP_2) | instskip(NEXT) | instid1(VALU_DEP_1)
	v_alignbit_b32 v26, v24, v21, v25
	v_dual_cndmask_b32 v7, v28, v23 :: v_dual_cndmask_b32 v22, v26, v24
	s_delay_alu instid0(VALU_DEP_1) | instskip(NEXT) | instid1(VALU_DEP_2)
	v_bfe_u32 v23, v7, 29, 1
	v_alignbit_b32 v24, v7, v22, 30
	s_delay_alu instid0(VALU_DEP_2) | instskip(NEXT) | instid1(VALU_DEP_1)
	v_sub_nc_u32_e32 v26, 0, v23
	v_dual_cndmask_b32 v11, v27, v11, s4 :: v_dual_bitop2_b32 v24, v24, v26 bitop3:0x14
	s_delay_alu instid0(VALU_DEP_1) | instskip(NEXT) | instid1(VALU_DEP_1)
	v_alignbit_b32 v25, v21, v11, v25
	v_cndmask_b32_e32 v21, v25, v21, vcc_lo
	s_delay_alu instid0(VALU_DEP_3) | instskip(NEXT) | instid1(VALU_DEP_2)
	v_clz_i32_u32_e32 v25, v24
	v_alignbit_b32 v22, v22, v21, 30
	s_delay_alu instid0(VALU_DEP_2) | instskip(SKIP_1) | instid1(VALU_DEP_2)
	v_min_u32_e32 v25, 32, v25
	v_alignbit_b32 v11, v21, v11, 30
	v_dual_sub_nc_u32 v22, 31, v25 :: v_dual_bitop2_b32 v21, v22, v26 bitop3:0x14
	s_delay_alu instid0(VALU_DEP_2) | instskip(SKIP_1) | instid1(VALU_DEP_3)
	v_dual_lshrrev_b32 v26, 29, v7 :: v_dual_bitop2_b32 v11, v11, v26 bitop3:0x14
	v_dual_lshlrev_b32 v27, 23, v25 :: v_dual_lshrrev_b32 v7, 30, v7
	v_alignbit_b32 v24, v24, v21, v22
	s_delay_alu instid0(VALU_DEP_3) | instskip(NEXT) | instid1(VALU_DEP_4)
	v_alignbit_b32 v11, v21, v11, v22
	v_lshlrev_b32_e32 v21, 31, v26
	s_delay_alu instid0(VALU_DEP_2) | instskip(NEXT) | instid1(VALU_DEP_2)
	v_alignbit_b32 v22, v24, v11, 9
	v_dual_lshrrev_b32 v24, 9, v24 :: v_dual_bitop2_b32 v26, 0.5, v21 bitop3:0x54
	v_or_b32_e32 v21, 0x33000000, v21
	s_delay_alu instid0(VALU_DEP_3) | instskip(NEXT) | instid1(VALU_DEP_3)
	v_clz_i32_u32_e32 v28, v22
	v_sub_nc_u32_e32 v26, v26, v27
	s_delay_alu instid0(VALU_DEP_2) | instskip(NEXT) | instid1(VALU_DEP_1)
	v_min_u32_e32 v27, 32, v28
	v_add_lshl_u32 v25, v27, v25, 23
	s_delay_alu instid0(VALU_DEP_1) | instskip(SKIP_1) | instid1(VALU_DEP_1)
	v_dual_sub_nc_u32 v21, v21, v25 :: v_dual_bitop2_b32 v24, v24, v26 bitop3:0x54
	v_not_b32_e32 v26, v27
	v_alignbit_b32 v11, v22, v11, v26
	s_delay_alu instid0(VALU_DEP_1) | instskip(NEXT) | instid1(VALU_DEP_1)
	v_dual_mul_f32 v28, 0x3fc90fda, v24 :: v_dual_lshrrev_b32 v11, 9, v11
	v_or_b32_e32 v11, v21, v11
	s_delay_alu instid0(VALU_DEP_2) | instskip(NEXT) | instid1(VALU_DEP_1)
	v_fma_f32 v22, 0x3fc90fda, v24, -v28
	v_fmac_f32_e32 v22, 0x33a22168, v24
	s_delay_alu instid0(VALU_DEP_1) | instskip(NEXT) | instid1(VALU_DEP_1)
	v_fmac_f32_e32 v22, 0x3fc90fda, v11
	v_dual_add_f32 v21, v28, v22 :: v_dual_add_nc_u32 v22, v23, v7
.LBB5_20:                               ;   in Loop: Header=BB5_2 Depth=1
	s_or_saveexec_b32 s3, s33
	v_mul_f32_e64 v7, 0x3f22f983, |v18|
	s_delay_alu instid0(VALU_DEP_1)
	v_rndne_f32_e32 v7, v7
	s_xor_b32 exec_lo, exec_lo, s3
; %bb.21:                               ;   in Loop: Header=BB5_2 Depth=1
	s_delay_alu instid0(VALU_DEP_1) | instskip(SKIP_1) | instid1(VALU_DEP_2)
	v_fma_f32 v21, 0xbfc90fda, v7, |v18|
	v_cvt_i32_f32_e32 v22, v7
	v_fmac_f32_e32 v21, 0xb3a22168, v7
	s_delay_alu instid0(VALU_DEP_1)
	v_fmac_f32_e32 v21, 0xa7c234c4, v7
; %bb.22:                               ;   in Loop: Header=BB5_2 Depth=1
	s_or_b32 exec_lo, exec_lo, s3
                                        ; implicit-def: $vgpr24
                                        ; implicit-def: $vgpr23
	s_and_saveexec_b32 s3, s31
	s_delay_alu instid0(SALU_CYCLE_1)
	s_xor_b32 s31, exec_lo, s3
	s_cbranch_execz .LBB5_24
; %bb.23:                               ;   in Loop: Header=BB5_2 Depth=1
	v_mul_u64_e32 v[24:25], s[24:25], v[14:15]
	v_mov_b32_e32 v27, v15
	v_cmp_lt_u32_e32 vcc_lo, 63, v3
	v_cndmask_b32_e64 v7, 0, 0xffffffc0, vcc_lo
	s_delay_alu instid0(VALU_DEP_4) | instskip(NEXT) | instid1(VALU_DEP_1)
	v_mov_b32_e32 v26, v25
	v_mad_nc_u64_u32 v[26:27], 0x3c439041, v14, v[26:27]
	s_delay_alu instid0(VALU_DEP_1) | instskip(NEXT) | instid1(VALU_DEP_1)
	v_dual_mov_b32 v29, v15 :: v_dual_mov_b32 v28, v27
	v_mad_nc_u64_u32 v[28:29], 0xdb629599, v14, v[28:29]
	s_delay_alu instid0(VALU_DEP_1) | instskip(NEXT) | instid1(VALU_DEP_1)
	v_dual_mov_b32 v31, v15 :: v_dual_mov_b32 v30, v29
	;; [unrolled: 3-line block ×3, first 2 shown]
	v_mad_nc_u64_u32 v[32:33], 0xfc2757d1, v14, v[32:33]
	s_delay_alu instid0(VALU_DEP_1) | instskip(NEXT) | instid1(VALU_DEP_2)
	v_dual_mov_b32 v35, v15 :: v_dual_mov_b32 v34, v33
	v_cndmask_b32_e32 v25, v32, v28, vcc_lo
	s_delay_alu instid0(VALU_DEP_2) | instskip(SKIP_1) | instid1(VALU_DEP_2)
	v_mad_nc_u64_u32 v[34:35], 0x4e441529, v14, v[34:35]
	v_add_nc_u32_e32 v3, v7, v3
	v_dual_mov_b32 v37, v15 :: v_dual_mov_b32 v36, v35
	s_delay_alu instid0(VALU_DEP_3) | instskip(NEXT) | instid1(VALU_DEP_3)
	v_cndmask_b32_e32 v11, v34, v30, vcc_lo
	v_cmp_lt_u32_e64 s3, 31, v3
	s_delay_alu instid0(VALU_DEP_3) | instskip(NEXT) | instid1(VALU_DEP_2)
	v_mad_nc_u64_u32 v[36:37], 0xa2f9836e, v14, v[36:37]
	v_cndmask_b32_e64 v7, 0, 0xffffffe0, s3
	s_delay_alu instid0(VALU_DEP_1) | instskip(NEXT) | instid1(VALU_DEP_1)
	v_dual_cndmask_b32 v14, v36, v32 :: v_dual_add_nc_u32 v3, v7, v3
	v_cmp_lt_u32_e64 s4, 31, v3
	s_delay_alu instid0(VALU_DEP_4) | instskip(NEXT) | instid1(VALU_DEP_2)
	v_cndmask_b32_e32 v23, v37, v34, vcc_lo
	v_cndmask_b32_e64 v7, 0, 0xffffffe0, s4
	s_delay_alu instid0(VALU_DEP_1) | instskip(NEXT) | instid1(VALU_DEP_3)
	v_dual_add_nc_u32 v3, v7, v3 :: v_dual_cndmask_b32 v7, v30, v26, vcc_lo
	v_dual_cndmask_b32 v26, v14, v11, s3 :: v_dual_cndmask_b32 v14, v23, v14, s3
	s_delay_alu instid0(VALU_DEP_2) | instskip(NEXT) | instid1(VALU_DEP_2)
	v_dual_cndmask_b32 v11, v11, v25, s3 :: v_dual_sub_nc_u32 v23, 32, v3
	v_dual_cndmask_b32 v25, v25, v7, s3 :: v_dual_cndmask_b32 v14, v14, v26, s4
	s_delay_alu instid0(VALU_DEP_1) | instskip(NEXT) | instid1(VALU_DEP_1)
	v_dual_cndmask_b32 v26, v26, v11, s4 :: v_dual_cndmask_b32 v11, v11, v25, s4
	v_alignbit_b32 v27, v14, v26, v23
	v_cndmask_b32_e32 v24, v28, v24, vcc_lo
	v_cmp_eq_u32_e32 vcc_lo, 0, v3
	s_delay_alu instid0(VALU_DEP_4) | instskip(NEXT) | instid1(VALU_DEP_4)
	v_alignbit_b32 v28, v26, v11, v23
	v_cndmask_b32_e32 v3, v27, v14, vcc_lo
	s_delay_alu instid0(VALU_DEP_2) | instskip(NEXT) | instid1(VALU_DEP_2)
	v_dual_cndmask_b32 v7, v7, v24, s3 :: v_dual_cndmask_b32 v14, v28, v26, vcc_lo
	v_bfe_u32 v24, v3, 29, 1
	s_delay_alu instid0(VALU_DEP_2) | instskip(NEXT) | instid1(VALU_DEP_3)
	v_cndmask_b32_e64 v7, v25, v7, s4
	v_alignbit_b32 v25, v3, v14, 30
	s_delay_alu instid0(VALU_DEP_3) | instskip(NEXT) | instid1(VALU_DEP_3)
	v_sub_nc_u32_e32 v26, 0, v24
	v_alignbit_b32 v23, v11, v7, v23
	s_delay_alu instid0(VALU_DEP_1) | instskip(NEXT) | instid1(VALU_DEP_1)
	v_dual_cndmask_b32 v11, v23, v11, vcc_lo :: v_dual_bitop2_b32 v25, v25, v26 bitop3:0x14
	v_clz_i32_u32_e32 v23, v25
	s_delay_alu instid0(VALU_DEP_2) | instskip(SKIP_1) | instid1(VALU_DEP_3)
	v_alignbit_b32 v14, v14, v11, 30
	v_alignbit_b32 v7, v11, v7, 30
	v_min_u32_e32 v23, 32, v23
	s_delay_alu instid0(VALU_DEP_3) | instskip(NEXT) | instid1(VALU_DEP_3)
	v_xor_b32_e32 v11, v14, v26
	v_dual_lshrrev_b32 v26, 29, v3 :: v_dual_bitop2_b32 v7, v7, v26 bitop3:0x14
	v_lshrrev_b32_e32 v3, 30, v3
	s_delay_alu instid0(VALU_DEP_4) | instskip(NEXT) | instid1(VALU_DEP_2)
	v_dual_sub_nc_u32 v14, 31, v23 :: v_dual_lshlrev_b32 v27, 23, v23
	v_add_nc_u32_e32 v24, v24, v3
	s_delay_alu instid0(VALU_DEP_2) | instskip(SKIP_2) | instid1(VALU_DEP_2)
	v_alignbit_b32 v25, v25, v11, v14
	v_alignbit_b32 v7, v11, v7, v14
	v_lshlrev_b32_e32 v11, 31, v26
	v_alignbit_b32 v14, v25, v7, 9
	s_delay_alu instid0(VALU_DEP_2) | instskip(SKIP_1) | instid1(VALU_DEP_3)
	v_dual_lshrrev_b32 v25, 9, v25 :: v_dual_bitop2_b32 v26, 0.5, v11 bitop3:0x54
	v_or_b32_e32 v11, 0x33000000, v11
	v_clz_i32_u32_e32 v28, v14
	s_delay_alu instid0(VALU_DEP_3) | instskip(NEXT) | instid1(VALU_DEP_2)
	v_sub_nc_u32_e32 v26, v26, v27
	v_min_u32_e32 v27, 32, v28
	s_delay_alu instid0(VALU_DEP_1) | instskip(NEXT) | instid1(VALU_DEP_3)
	v_add_lshl_u32 v23, v27, v23, 23
	v_or_b32_e32 v25, v25, v26
	v_not_b32_e32 v26, v27
	s_delay_alu instid0(VALU_DEP_3) | instskip(NEXT) | instid1(VALU_DEP_2)
	v_sub_nc_u32_e32 v11, v11, v23
	v_alignbit_b32 v7, v14, v7, v26
	s_delay_alu instid0(VALU_DEP_1) | instskip(NEXT) | instid1(VALU_DEP_1)
	v_dual_mul_f32 v28, 0x3fc90fda, v25 :: v_dual_lshrrev_b32 v7, 9, v7
	v_fma_f32 v14, 0x3fc90fda, v25, -v28
	s_delay_alu instid0(VALU_DEP_2) | instskip(NEXT) | instid1(VALU_DEP_2)
	v_or_b32_e32 v7, v11, v7
	v_fmac_f32_e32 v14, 0x33a22168, v25
	s_delay_alu instid0(VALU_DEP_1) | instskip(NEXT) | instid1(VALU_DEP_1)
	v_fmac_f32_e32 v14, 0x3fc90fda, v7
                                        ; implicit-def: $vgpr7
	v_add_f32_e32 v23, v28, v14
	s_and_not1_saveexec_b32 s3, s31
	s_cbranch_execz .LBB5_1
	s_branch .LBB5_25
.LBB5_24:                               ;   in Loop: Header=BB5_2 Depth=1
	s_and_not1_saveexec_b32 s3, s31
	s_cbranch_execz .LBB5_1
.LBB5_25:                               ;   in Loop: Header=BB5_2 Depth=1
	v_fma_f32 v23, 0xbfc90fda, v7, |v18|
	v_cvt_i32_f32_e32 v24, v7
	s_delay_alu instid0(VALU_DEP_2) | instskip(NEXT) | instid1(VALU_DEP_1)
	v_fmac_f32_e32 v23, 0xb3a22168, v7
	v_fmac_f32_e32 v23, 0xa7c234c4, v7
	s_branch .LBB5_1
.LBB5_26:
	s_clause 0x13
	scratch_load_b128 v[0:3], off, off offset:464
	scratch_load_b128 v[4:7], off, off offset:496
	;; [unrolled: 1-line block ×20, first 2 shown]
	s_clause 0x1
	s_load_b64 s[14:15], s[0:1], 0x0
	s_load_b128 s[4:7], s[0:1], 0x48
	scratch_load_b128 v[80:83], off, off offset:528
	s_add_nc_u64 s[8:9], s[8:9], 8
	s_mov_b32 s13, 0
	s_mov_b32 s12, 0x42340000
	s_wait_kmcnt 0x0
	s_max_i32 s17, s15, 1
	s_max_i32 s19, s14, 1
	s_wait_loadcnt 0x0
	scratch_store_b128 off, v[80:83], off offset:1772 ; 16-byte Folded Spill
	s_wait_xcnt 0x0
	v_dual_mov_b32 v80, v3 :: v_dual_mov_b32 v81, v7
	v_mov_b32_e32 v3, v6
	scratch_store_b64 off, v[80:81], off offset:2372 ; 8-byte Folded Spill
	s_wait_xcnt 0x0
	v_dual_mov_b32 v80, v0 :: v_dual_mov_b32 v81, v4
	v_mov_b32_e32 v4, v1
	scratch_store_b128 off, v[0:3], off offset:2052 ; 16-byte Folded Spill
	s_wait_xcnt 0x0
	v_dual_mov_b32 v0, v11 :: v_dual_mov_b32 v1, v15
	s_clause 0x1
	scratch_store_b64 off, v[80:81], off offset:2380
	scratch_store_b128 off, v[4:7], off offset:2068
	v_mov_b32_e32 v11, v14
	scratch_store_b64 off, v[0:1], off offset:2388 ; 8-byte Folded Spill
	s_wait_xcnt 0x0
	v_dual_mov_b32 v0, v8 :: v_dual_mov_b32 v1, v12
	v_mov_b32_e32 v12, v9
	s_clause 0x1
	scratch_store_b128 off, v[8:11], off offset:2084
	scratch_store_b64 off, v[0:1], off offset:2396
	s_wait_xcnt 0x0
	v_dual_mov_b32 v0, v19 :: v_dual_mov_b32 v1, v23
	v_mov_b32_e32 v19, v22
	s_clause 0x1
	scratch_store_b128 off, v[12:15], off offset:2100
	scratch_store_b64 off, v[0:1], off offset:2404
	;; [unrolled: 6-line block ×17, first 2 shown]
	scratch_store_b128 off, v[72:75], off offset:2340
	scratch_load_b128 v[0:3], off, off offset:608
	scratch_load_b128 v[6:9], off, off offset:640
	scratch_load_b128 v[10:13], off, off offset:656
	s_wait_loadcnt 0x1
	v_dual_mov_b32 v4, v0 :: v_dual_mov_b32 v5, v6
	v_mov_b32_e32 v6, v1
	s_delay_alu instid0(VALU_DEP_1)
	v_mov_b64_e32 v[0:1], v[6:7]
	scratch_store_b64 off, v[4:5], off offset:2548 ; 8-byte Folded Spill
	s_wait_xcnt 0x0
	v_dual_mov_b32 v4, v3 :: v_dual_mov_b32 v5, v9
	scratch_store_b128 off, v[0:3], off offset:2556 ; 16-byte Folded Spill
	s_wait_xcnt 0x0
	v_mov_b32_e32 v3, v8
	s_clause 0x2
	scratch_store_b64 off, v[4:5], off offset:2588
	scratch_store_b128 off, v[0:3], off offset:2532
	scratch_load_b128 v[2:5], off, off offset:688
	s_wait_loadcnt 0x0
	v_dual_mov_b32 v0, v10 :: v_dual_mov_b32 v1, v2
	v_mov_b32_e32 v2, v11
	scratch_store_b64 off, v[0:1], off offset:2596 ; 8-byte Folded Spill
	s_wait_xcnt 0x0
	v_dual_mov_b32 v0, v13 :: v_dual_mov_b32 v1, v5
	v_mov_b32_e32 v13, v4
	scratch_store_b64 off, v[0:1], off offset:2620 ; 8-byte Folded Spill
	s_wait_xcnt 0x0
	v_mov_b64_e32 v[0:1], v[2:3]
	s_clause 0x4
	scratch_store_b128 off, v[10:13], off offset:2572
	scratch_store_b128 off, v[0:3], off offset:2604
	scratch_load_b128 v[0:3], off, off offset:704
	scratch_load_b128 v[6:9], off, off offset:736
	scratch_load_b128 v[10:13], off, off offset:752
	s_wait_loadcnt 0x1
	v_dual_mov_b32 v4, v0 :: v_dual_mov_b32 v5, v6
	v_mov_b32_e32 v6, v1
	s_delay_alu instid0(VALU_DEP_1)
	v_mov_b64_e32 v[0:1], v[6:7]
	scratch_store_b64 off, v[4:5], off offset:2644 ; 8-byte Folded Spill
	s_wait_xcnt 0x0
	v_dual_mov_b32 v4, v3 :: v_dual_mov_b32 v5, v9
	scratch_store_b128 off, v[0:3], off offset:2652 ; 16-byte Folded Spill
	s_wait_xcnt 0x0
	v_mov_b32_e32 v3, v8
	s_clause 0x2
	scratch_store_b64 off, v[4:5], off offset:2684
	scratch_store_b128 off, v[0:3], off offset:2628
	scratch_load_b128 v[2:5], off, off offset:784
	s_wait_loadcnt 0x0
	v_dual_mov_b32 v0, v10 :: v_dual_mov_b32 v1, v2
	v_mov_b32_e32 v2, v11
	scratch_store_b64 off, v[0:1], off offset:2692 ; 8-byte Folded Spill
	s_wait_xcnt 0x0
	v_dual_mov_b32 v0, v13 :: v_dual_mov_b32 v1, v5
	v_mov_b32_e32 v13, v4
	scratch_store_b64 off, v[0:1], off offset:2716 ; 8-byte Folded Spill
	s_wait_xcnt 0x0
	v_mov_b64_e32 v[0:1], v[2:3]
	s_clause 0x4
	scratch_store_b128 off, v[10:13], off offset:2668
	;; [unrolled: 31-line block ×11, first 2 shown]
	scratch_load_b128 v[0:3], off, off offset:144
	s_wait_loadcnt 0x0
	s_clause 0x2
	scratch_store_b128 off, v[0:3], off offset:3588
	scratch_load_b128 v[0:3], off, off offset:192
	scratch_store_b128 off, v[10:13], off offset:3532
	s_wait_loadcnt 0x0
	s_clause 0x1
	scratch_store_b128 off, v[0:3], off offset:1788
	scratch_load_b128 v[0:3], off, off offset:240
	s_wait_loadcnt 0x0
	s_clause 0x1
	scratch_store_b128 off, v[0:3], off offset:3604
	scratch_load_b128 v[0:3], off, off offset:288
	;; [unrolled: 4-line block ×29, first 2 shown]
	s_wait_loadcnt 0x0
	s_clause 0x8
	scratch_store_b128 off, v[0:3], off offset:3860
	scratch_load_b128 v[98:101], off, off
	scratch_load_b128 v[92:95], off, off offset:16
	scratch_load_b128 v[86:89], off, off offset:32
	;; [unrolled: 1-line block ×7, first 2 shown]
.LBB5_27:                               ; =>This Loop Header: Depth=1
                                        ;     Child Loop BB5_28 Depth 2
	s_wait_xcnt 0x8
	v_mov_b32_e32 v0, s13
	s_mov_b32 s25, s17
	s_mov_b64 s[14:15], s[8:9]
	global_load_b128 v[28:31], v0, s[10:11] scale_offset
	s_clause 0x2
	scratch_load_b128 v[120:123], off, off offset:3588
	scratch_load_b64 v[0:1], off, off offset:2484
	scratch_load_b64 v[2:3], off, off offset:2492
	s_wait_loadcnt 0x2
	v_fma_f32 v18, v28, v120, v123
	s_wait_loadcnt 0x0
	v_pk_fma_f32 v[0:1], v[28:29], v[2:3], v[0:1] op_sel_hi:[0,1,1]
	scratch_load_b128 v[2:5], off, off offset:2292 ; 16-byte Folded Reload
	s_wait_loadcnt 0x0
	v_pk_fma_f32 v[96:97], v[28:29], v[2:3], v[0:1] op_sel:[1,0,0]
	scratch_load_b128 v[0:3], off, off offset:1788 ; 16-byte Folded Reload
	s_wait_loadcnt 0x0
	v_dual_fmac_f32 v18, v29, v121 :: v_dual_fma_f32 v19, v28, v0, v3
	s_clause 0x1
	scratch_load_b64 v[2:3], off, off offset:2468
	scratch_load_b64 v[4:5], off, off offset:2476
	v_fmac_f32_e32 v19, v29, v1
	s_wait_loadcnt 0x0
	v_pk_fma_f32 v[2:3], v[28:29], v[4:5], v[2:3] op_sel_hi:[0,1,1]
	scratch_load_b128 v[4:7], off, off offset:2260 ; 16-byte Folded Reload
	s_wait_loadcnt 0x0
	v_pk_fma_f32 v[0:1], v[28:29], v[4:5], v[2:3] op_sel:[1,0,0]
	s_clause 0x3
	scratch_store_b64 off, v[0:1], off offset:1668
	scratch_load_b128 v[0:3], off, off offset:3604
	scratch_load_b64 v[4:5], off, off offset:2452
	scratch_load_b64 v[6:7], off, off offset:2460
	s_wait_loadcnt 0x0
	v_pk_fma_f32 v[4:5], v[28:29], v[6:7], v[4:5] op_sel_hi:[0,1,1]
	scratch_load_b128 v[6:9], off, off offset:2228 ; 16-byte Folded Reload
	s_wait_loadcnt 0x0
	v_pk_fma_f32 v[4:5], v[28:29], v[6:7], v[4:5] op_sel:[1,0,0]
	s_clause 0x1
	scratch_store_b64 off, v[4:5], off offset:1676
	scratch_load_b128 v[4:7], off, off offset:1804
	v_fma_f32 v0, v28, v0, v3
	s_delay_alu instid0(VALU_DEP_1)
	v_dual_fmac_f32 v0, v29, v1 :: v_dual_mov_b32 v90, v19
	s_wait_loadcnt 0x0
	v_fma_f32 v1, v28, v4, v7
	s_clause 0x1
	scratch_load_b64 v[6:7], off, off offset:2436
	scratch_load_b64 v[8:9], off, off offset:2444
	v_fmac_f32_e32 v1, v29, v5
	s_wait_loadcnt 0x0
	v_pk_fma_f32 v[6:7], v[28:29], v[8:9], v[6:7] op_sel_hi:[0,1,1]
	scratch_load_b128 v[8:11], off, off offset:2196 ; 16-byte Folded Reload
	s_wait_loadcnt 0x0
	v_pk_fma_f32 v[4:5], v[28:29], v[8:9], v[6:7] op_sel:[1,0,0]
	s_clause 0x3
	scratch_store_b64 off, v[4:5], off offset:1684
	scratch_load_b128 v[4:7], off, off offset:1820
	scratch_load_b64 v[8:9], off, off offset:2420
	scratch_load_b64 v[10:11], off, off offset:2428
	s_wait_loadcnt 0x2
	v_fma_f32 v3, v28, v4, v7
	s_wait_loadcnt 0x0
	v_pk_fma_f32 v[8:9], v[28:29], v[10:11], v[8:9] op_sel_hi:[0,1,1]
	scratch_load_b128 v[10:13], off, off offset:2164 ; 16-byte Folded Reload
	v_fmac_f32_e32 v3, v29, v5
	s_wait_loadcnt 0x0
	v_pk_fma_f32 v[4:5], v[28:29], v[10:11], v[8:9] op_sel:[1,0,0]
	s_clause 0x3
	scratch_store_b64 off, v[4:5], off offset:1692
	scratch_load_b128 v[4:7], off, off offset:1836
	scratch_load_b64 v[10:11], off, off offset:2404
	scratch_load_b64 v[12:13], off, off offset:2412
	s_wait_loadcnt 0x2
	v_dual_mov_b32 v78, v3 :: v_dual_fma_f32 v3, v28, v4, v7
	s_wait_loadcnt 0x0
	v_pk_fma_f32 v[10:11], v[28:29], v[12:13], v[10:11] op_sel_hi:[0,1,1]
	scratch_load_b128 v[12:15], off, off offset:2132 ; 16-byte Folded Reload
	v_fmac_f32_e32 v3, v29, v5
	s_wait_loadcnt 0x0
	v_pk_fma_f32 v[4:5], v[28:29], v[12:13], v[10:11] op_sel:[1,0,0]
	s_clause 0x3
	scratch_store_b64 off, v[4:5], off offset:1700
	scratch_load_b128 v[4:7], off, off offset:1852
	scratch_load_b64 v[12:13], off, off offset:2388
	scratch_load_b64 v[14:15], off, off offset:2396
	s_wait_loadcnt 0x2
	v_fma_f32 v81, v28, v4, v7
	s_wait_loadcnt 0x0
	v_pk_fma_f32 v[12:13], v[28:29], v[14:15], v[12:13] op_sel_hi:[0,1,1]
	scratch_load_b128 v[14:17], off, off offset:2100 ; 16-byte Folded Reload
	v_fmac_f32_e32 v81, v29, v5
	s_wait_loadcnt 0x0
	v_pk_fma_f32 v[4:5], v[28:29], v[14:15], v[12:13] op_sel:[1,0,0]
	s_clause 0x4
	scratch_store_b64 off, v[4:5], off offset:1708
	scratch_load_b128 v[4:7], off, off offset:1868
	scratch_load_b64 v[12:13], off, off offset:2372
	scratch_load_b64 v[14:15], off, off offset:2380
	scratch_load_b128 v[24:27], off, off offset:2068
	s_wait_loadcnt 0x3
	v_fma_f32 v66, v28, v4, v7
	s_wait_loadcnt 0x1
	v_pk_fma_f32 v[12:13], v[28:29], v[14:15], v[12:13] op_sel_hi:[0,1,1]
	s_delay_alu instid0(VALU_DEP_2) | instskip(SKIP_1) | instid1(VALU_DEP_2)
	v_fmac_f32_e32 v66, v29, v5
	s_wait_loadcnt 0x0
	v_pk_fma_f32 v[4:5], v[28:29], v[24:25], v[12:13] op_sel:[1,0,0]
	s_clause 0x4
	scratch_store_b64 off, v[4:5], off offset:1716
	scratch_load_b128 v[4:7], off, off offset:1772
	scratch_load_b64 v[12:13], off, off offset:2500
	scratch_load_b64 v[14:15], off, off offset:2508
	scratch_load_b128 v[24:27], off, off offset:2324
	s_wait_loadcnt 0x3
	v_dual_mov_b32 v79, v3 :: v_dual_fma_f32 v69, v28, v4, v7
	s_wait_loadcnt 0x1
	v_pk_fma_f32 v[14:15], v[28:29], v[12:13], v[14:15] op_sel_hi:[0,1,1]
	s_delay_alu instid0(VALU_DEP_2) | instskip(SKIP_1) | instid1(VALU_DEP_2)
	v_fmac_f32_e32 v69, v29, v5
	s_wait_loadcnt 0x0
	v_pk_fma_f32 v[4:5], v[28:29], v[24:25], v[14:15] op_sel:[1,0,0]
	s_clause 0x4
	scratch_store_b64 off, v[4:5], off offset:1724
	scratch_load_b128 v[4:7], off, off offset:1884
	scratch_load_b64 v[14:15], off, off offset:2516
	scratch_load_b64 v[26:27], off, off offset:2524
	scratch_load_b128 v[32:35], off, off offset:2356
	s_wait_loadcnt 0x3
	v_fma_f32 v61, v28, v4, v7
	s_wait_loadcnt 0x1
	v_pk_fma_f32 v[14:15], v[28:29], v[14:15], v[26:27] op_sel_hi:[0,1,1]
	s_delay_alu instid0(VALU_DEP_2) | instskip(SKIP_1) | instid1(VALU_DEP_2)
	v_fmac_f32_e32 v61, v29, v5
	s_wait_loadcnt 0x0
	v_pk_fma_f32 v[4:5], v[28:29], v[32:33], v[14:15] op_sel:[1,0,0]
	s_clause 0x3
	scratch_store_b64 off, v[4:5], off offset:1732
	scratch_load_b128 v[4:7], off, off offset:1900
	scratch_load_b64 v[32:33], off, off offset:2548
	scratch_load_b64 v[34:35], off, off offset:2588
	s_wait_loadcnt 0x2
	v_fma_f32 v67, v28, v4, v7
	s_wait_loadcnt 0x0
	v_pk_fma_f32 v[32:33], v[28:29], v[32:33], v[34:35] op_sel_hi:[0,1,1]
	scratch_load_b128 v[34:37], off, off offset:2556 ; 16-byte Folded Reload
	v_fmac_f32_e32 v67, v29, v5
	s_wait_loadcnt 0x0
	v_pk_fma_f32 v[4:5], v[28:29], v[34:35], v[32:33] op_sel:[1,0,0]
	s_clause 0x3
	scratch_store_b64 off, v[4:5], off offset:1740
	scratch_load_b128 v[4:7], off, off offset:1916
	scratch_load_b64 v[34:35], off, off offset:2596
	scratch_load_b64 v[36:37], off, off offset:2620
	s_wait_loadcnt 0x2
	v_fma_f32 v60, v28, v4, v7
	s_wait_loadcnt 0x0
	v_pk_fma_f32 v[34:35], v[28:29], v[34:35], v[36:37] op_sel_hi:[0,1,1]
	scratch_load_b128 v[36:39], off, off offset:2604 ; 16-byte Folded Reload
	v_fmac_f32_e32 v60, v29, v5
	s_wait_loadcnt 0x0
	v_pk_fma_f32 v[4:5], v[28:29], v[36:37], v[34:35] op_sel:[1,0,0]
	s_clause 0x4
	scratch_store_b64 off, v[4:5], off offset:1748
	scratch_load_b128 v[4:7], off, off offset:1932
	scratch_load_b64 v[36:37], off, off offset:2644
	scratch_load_b64 v[38:39], off, off offset:2684
	scratch_load_b128 v[8:11], off, off offset:1948
	s_wait_loadcnt 0x3
	v_fma_f32 v6, v28, v4, v7
	s_wait_loadcnt 0x1
	v_pk_fma_f32 v[36:37], v[28:29], v[36:37], v[38:39] op_sel_hi:[0,1,1]
	scratch_load_b128 v[38:41], off, off offset:2652 ; 16-byte Folded Reload
	s_wait_loadcnt 0x1
	v_dual_fma_f32 v3, v28, v8, v11 :: v_dual_fmac_f32 v6, v29, v5
	s_delay_alu instid0(VALU_DEP_1)
	v_fmac_f32_e32 v3, v29, v9
	s_wait_loadcnt 0x0
	v_pk_fma_f32 v[4:5], v[28:29], v[38:39], v[36:37] op_sel:[1,0,0]
	s_clause 0x3
	scratch_store_b64 off, v[4:5], off offset:1756
	scratch_load_b64 v[36:37], off, off offset:2692
	scratch_load_b64 v[38:39], off, off offset:2716
	scratch_load_b128 v[8:11], off, off offset:1964
	s_wait_loadcnt 0x1
	v_pk_fma_f32 v[36:37], v[28:29], v[36:37], v[38:39] op_sel_hi:[0,1,1]
	scratch_load_b128 v[38:41], off, off offset:2700 ; 16-byte Folded Reload
	s_wait_loadcnt 0x0
	s_wait_xcnt 0x4
	v_pk_fma_f32 v[4:5], v[28:29], v[38:39], v[36:37] op_sel:[1,0,0]
	s_clause 0x2
	scratch_store_b64 off, v[4:5], off offset:1764
	scratch_load_b64 v[36:37], off, off offset:2740
	scratch_load_b64 v[38:39], off, off offset:2780
	s_wait_xcnt 0x2
	v_fma_f32 v4, v28, v8, v11
	s_delay_alu instid0(VALU_DEP_1)
	v_fmac_f32_e32 v4, v29, v9
	s_wait_loadcnt 0x0
	v_pk_fma_f32 v[36:37], v[28:29], v[36:37], v[38:39] op_sel_hi:[0,1,1]
	scratch_load_b128 v[38:41], off, off offset:2748 ; 16-byte Folded Reload
	s_wait_loadcnt 0x0
	v_pk_fma_f32 v[8:9], v[28:29], v[38:39], v[36:37] op_sel:[1,0,0]
	s_clause 0x4
	scratch_store_b64 off, v[8:9], off offset:1996
	scratch_load_b128 v[8:11], off, off offset:1980
	scratch_load_b64 v[36:37], off, off offset:2788
	scratch_load_b64 v[38:39], off, off offset:2812
	scratch_load_b128 v[124:127], off, off offset:3620
	s_wait_loadcnt 0x3
	v_fma_f32 v5, v28, v8, v11
	s_wait_loadcnt 0x1
	v_pk_fma_f32 v[36:37], v[28:29], v[36:37], v[38:39] op_sel_hi:[0,1,1]
	scratch_load_b128 v[38:41], off, off offset:2796 ; 16-byte Folded Reload
	s_wait_loadcnt 0x1
	v_dual_fma_f32 v7, v28, v124, v127 :: v_dual_fmac_f32 v5, v29, v9
	s_wait_loadcnt 0x0
	v_pk_fma_f32 v[8:9], v[28:29], v[38:39], v[36:37] op_sel:[1,0,0]
	s_clause 0x3
	scratch_store_b64 off, v[8:9], off offset:2004
	scratch_load_b64 v[36:37], off, off offset:2836
	scratch_load_b64 v[38:39], off, off offset:2876
	scratch_load_b128 v[114:117], off, off offset:3636
	v_mov_b32_e32 v127, v5
	s_wait_loadcnt 0x1
	v_pk_fma_f32 v[36:37], v[28:29], v[36:37], v[38:39] op_sel_hi:[0,1,1]
	scratch_load_b128 v[38:41], off, off offset:2844 ; 16-byte Folded Reload
	s_wait_loadcnt 0x1
	v_dual_fma_f32 v117, v28, v114, v117 :: v_dual_fmac_f32 v7, v29, v125
	s_delay_alu instid0(VALU_DEP_1)
	v_fmac_f32_e32 v117, v29, v115
	s_wait_loadcnt 0x0
	s_wait_xcnt 0x4
	v_pk_fma_f32 v[8:9], v[28:29], v[38:39], v[36:37] op_sel:[1,0,0]
	s_clause 0x3
	scratch_store_b64 off, v[8:9], off offset:2012
	scratch_load_b64 v[36:37], off, off offset:2884
	scratch_load_b64 v[38:39], off, off offset:2908
	scratch_load_b128 v[118:121], off, off offset:3652
	s_wait_loadcnt 0x1
	v_pk_fma_f32 v[36:37], v[28:29], v[36:37], v[38:39] op_sel_hi:[0,1,1]
	scratch_load_b128 v[38:41], off, off offset:2892 ; 16-byte Folded Reload
	s_wait_loadcnt 0x1
	v_dual_fma_f32 v80, v28, v118, v121 :: v_dual_mov_b32 v121, v3
	s_delay_alu instid0(VALU_DEP_1) | instskip(NEXT) | instid1(VALU_DEP_1)
	v_dual_mov_b32 v3, v18 :: v_dual_fmac_f32 v80, v29, v119
	v_dual_fmac_f32 v3, v30, v122 :: v_dual_fmac_f32 v80, v30, v120
	s_wait_loadcnt 0x0
	s_wait_xcnt 0x4
	v_pk_fma_f32 v[8:9], v[28:29], v[38:39], v[36:37] op_sel:[1,0,0]
	s_clause 0x3
	scratch_store_b64 off, v[8:9], off offset:2020
	scratch_load_b64 v[36:37], off, off offset:2932
	scratch_load_b64 v[38:39], off, off offset:2972
	scratch_load_b128 v[82:85], off, off offset:3668
	s_wait_loadcnt 0x1
	v_pk_fma_f32 v[36:37], v[28:29], v[36:37], v[38:39] op_sel_hi:[0,1,1]
	scratch_load_b128 v[38:41], off, off offset:2940 ; 16-byte Folded Reload
	s_wait_loadcnt 0x1
	v_fma_f32 v5, v28, v82, v85
	s_wait_loadcnt 0x0
	s_wait_xcnt 0x4
	v_pk_fma_f32 v[8:9], v[28:29], v[38:39], v[36:37] op_sel:[1,0,0]
	s_clause 0x3
	scratch_store_b64 off, v[8:9], off offset:2028
	scratch_load_b64 v[36:37], off, off offset:2980
	scratch_load_b64 v[38:39], off, off offset:3004
	scratch_load_b128 v[74:77], off, off offset:3684
	s_wait_loadcnt 0x1
	v_pk_fma_f32 v[36:37], v[28:29], v[36:37], v[38:39] op_sel_hi:[0,1,1]
	scratch_load_b128 v[38:41], off, off offset:2988 ; 16-byte Folded Reload
	s_wait_loadcnt 0x0
	s_wait_xcnt 0x4
	v_pk_fma_f32 v[8:9], v[28:29], v[38:39], v[36:37] op_sel:[1,0,0]
	s_clause 0x3
	scratch_store_b64 off, v[8:9], off offset:2036
	scratch_load_b64 v[36:37], off, off offset:3028
	scratch_load_b64 v[38:39], off, off offset:3068
	scratch_load_b128 v[52:55], off, off offset:3700
	v_fmac_f32_e32 v5, v29, v83
	s_wait_loadcnt 0x1
	v_pk_fma_f32 v[36:37], v[28:29], v[36:37], v[38:39] op_sel_hi:[0,1,1]
	scratch_load_b128 v[38:41], off, off offset:3036 ; 16-byte Folded Reload
	s_wait_loadcnt 0x1
	v_dual_fma_f32 v55, v28, v52, v55 :: v_dual_fma_f32 v68, v28, v74, v77
	s_delay_alu instid0(VALU_DEP_1)
	v_fmac_f32_e32 v55, v29, v53
	s_wait_loadcnt 0x0
	s_wait_xcnt 0x4
	v_pk_fma_f32 v[8:9], v[28:29], v[38:39], v[36:37] op_sel:[1,0,0]
	s_clause 0x3
	scratch_store_b64 off, v[8:9], off offset:2044
	scratch_load_b64 v[36:37], off, off offset:3076
	scratch_load_b64 v[38:39], off, off offset:3100
	scratch_load_b128 v[48:51], off, off offset:3716
	v_fmac_f32_e32 v68, v29, v75
	s_wait_loadcnt 0x1
	v_pk_fma_f32 v[36:37], v[28:29], v[36:37], v[38:39] op_sel_hi:[0,1,1]
	scratch_load_b128 v[38:41], off, off offset:3084 ; 16-byte Folded Reload
	s_wait_loadcnt 0x1
	v_dual_fma_f32 v51, v28, v48, v51 :: v_dual_mov_b32 v120, v5
	v_dual_fmac_f32 v68, v30, v76 :: v_dual_mov_b32 v76, v55
	s_delay_alu instid0(VALU_DEP_2)
	v_dual_fmac_f32 v51, v29, v49 :: v_dual_fmac_f32 v120, v30, v84
	s_wait_loadcnt 0x0
	v_pk_fma_f32 v[124:125], v[28:29], v[38:39], v[36:37] op_sel:[1,0,0]
	s_clause 0x2
	scratch_load_b64 v[36:37], off, off offset:3124
	scratch_load_b64 v[38:39], off, off offset:3164
	scratch_load_b128 v[44:47], off, off offset:3732
	s_wait_loadcnt 0x1
	v_pk_fma_f32 v[36:37], v[28:29], v[36:37], v[38:39] op_sel_hi:[0,1,1]
	scratch_load_b128 v[38:41], off, off offset:3132 ; 16-byte Folded Reload
	s_wait_loadcnt 0x0
	v_pk_fma_f32 v[118:119], v[28:29], v[38:39], v[36:37] op_sel:[1,0,0]
	s_clause 0x2
	scratch_load_b64 v[36:37], off, off offset:3172
	scratch_load_b64 v[38:39], off, off offset:3196
	scratch_load_b128 v[32:35], off, off offset:3748
	s_wait_loadcnt 0x1
	v_pk_fma_f32 v[36:37], v[28:29], v[36:37], v[38:39] op_sel_hi:[0,1,1]
	scratch_load_b128 v[38:41], off, off offset:3180 ; 16-byte Folded Reload
	s_wait_loadcnt 0x1
	v_fma_f32 v35, v28, v32, v35
	s_delay_alu instid0(VALU_DEP_1)
	v_fmac_f32_e32 v35, v29, v33
	s_wait_loadcnt 0x0
	v_pk_fma_f32 v[114:115], v[28:29], v[38:39], v[36:37] op_sel:[1,0,0]
	s_clause 0x2
	scratch_load_b64 v[36:37], off, off offset:3220
	scratch_load_b64 v[38:39], off, off offset:3260
	scratch_load_b128 v[24:27], off, off offset:3764
	v_fma_f32 v85, v28, v44, v47
	s_wait_loadcnt 0x1
	v_pk_fma_f32 v[36:37], v[28:29], v[36:37], v[38:39] op_sel_hi:[0,1,1]
	scratch_load_b128 v[38:41], off, off offset:3228 ; 16-byte Folded Reload
	s_wait_loadcnt 0x0
	v_pk_fma_f32 v[52:53], v[28:29], v[38:39], v[36:37] op_sel:[1,0,0]
	s_clause 0x2
	scratch_load_b64 v[36:37], off, off offset:3268
	scratch_load_b64 v[38:39], off, off offset:3292
	scratch_load_b128 v[16:19], off, off offset:3780
	s_wait_loadcnt 0x1
	v_pk_fma_f32 v[36:37], v[28:29], v[36:37], v[38:39] op_sel_hi:[0,1,1]
	scratch_load_b128 v[38:41], off, off offset:3276 ; 16-byte Folded Reload
	s_wait_loadcnt 0x1
	v_fma_f32 v77, v28, v16, v19
	v_dual_fma_f32 v47, v28, v24, v27 :: v_dual_mov_b32 v27, v79
	s_delay_alu instid0(VALU_DEP_2) | instskip(NEXT) | instid1(VALU_DEP_2)
	v_fmac_f32_e32 v77, v29, v17
	v_fmac_f32_e32 v47, v29, v25
	v_fmac_f32_e32 v85, v29, v45
	s_wait_loadcnt 0x0
	v_pk_fma_f32 v[48:49], v[28:29], v[38:39], v[36:37] op_sel:[1,0,0]
	s_clause 0x2
	scratch_load_b64 v[36:37], off, off offset:3316
	scratch_load_b64 v[38:39], off, off offset:3356
	scratch_load_b128 v[12:15], off, off offset:3796
	s_wait_loadcnt 0x1
	v_pk_fma_f32 v[36:37], v[28:29], v[36:37], v[38:39] op_sel_hi:[0,1,1]
	scratch_load_b128 v[38:41], off, off offset:3324 ; 16-byte Folded Reload
	s_wait_loadcnt 0x0
	v_pk_fma_f32 v[24:25], v[28:29], v[38:39], v[36:37] op_sel:[1,0,0]
	s_clause 0x2
	scratch_load_b64 v[38:39], off, off offset:3364
	scratch_load_b64 v[40:41], off, off offset:3388
	scratch_load_b128 v[8:11], off, off offset:3812
	s_wait_loadcnt 0x1
	v_pk_fma_f32 v[38:39], v[28:29], v[38:39], v[40:41] op_sel_hi:[0,1,1]
	scratch_load_b128 v[40:43], off, off offset:3372 ; 16-byte Folded Reload
	s_wait_loadcnt 0x1
	v_dual_fma_f32 v16, v28, v8, v11 :: v_dual_mov_b32 v11, v78
	s_delay_alu instid0(VALU_DEP_1) | instskip(NEXT) | instid1(VALU_DEP_1)
	v_fmac_f32_e32 v16, v29, v9
	v_fmac_f32_e32 v16, v30, v10
	s_wait_loadcnt 0x0
	v_pk_fma_f32 v[32:33], v[28:29], v[40:41], v[38:39] op_sel:[1,0,0]
	s_clause 0x2
	scratch_load_b64 v[40:41], off, off offset:3412
	scratch_load_b64 v[42:43], off, off offset:3452
	scratch_load_b128 v[36:39], off, off offset:3828
	s_wait_loadcnt 0x1
	v_pk_fma_f32 v[106:107], v[28:29], v[40:41], v[42:43] op_sel_hi:[0,1,1]
	scratch_load_b128 v[40:43], off, off offset:3420 ; 16-byte Folded Reload
	s_wait_loadcnt 0x1
	v_fma_f32 v17, v28, v36, v39
	s_delay_alu instid0(VALU_DEP_1) | instskip(NEXT) | instid1(VALU_DEP_1)
	v_dual_fma_f32 v15, v28, v12, v15 :: v_dual_fmac_f32 v17, v29, v37
	v_dual_fmac_f32 v15, v29, v13 :: v_dual_fmac_f32 v17, v30, v38
	s_wait_loadcnt 0x0
	v_pk_fma_f32 v[8:9], v[28:29], v[40:41], v[106:107] op_sel:[1,0,0]
	s_clause 0x1
	scratch_load_b64 v[40:41], off, off offset:3460
	scratch_load_b64 v[42:43], off, off offset:3484
	s_wait_loadcnt 0x0
	v_pk_fma_f32 v[108:109], v[28:29], v[40:41], v[42:43] op_sel_hi:[0,1,1]
	scratch_load_b128 v[40:43], off, off offset:3468 ; 16-byte Folded Reload
	s_wait_loadcnt 0x0
	v_pk_fma_f32 v[36:37], v[28:29], v[40:41], v[108:109] op_sel:[1,0,0]
	s_clause 0x3
	scratch_load_b128 v[106:109], off, off offset:3844
	scratch_load_b64 v[40:41], off, off offset:3508
	scratch_load_b64 v[42:43], off, off offset:3548
	scratch_load_b128 v[102:105], off, off offset:3516
	s_wait_loadcnt 0x3
	v_fma_f32 v19, v28, v106, v109
	s_wait_loadcnt 0x1
	v_pk_fma_f32 v[40:41], v[28:29], v[40:41], v[42:43] op_sel_hi:[0,1,1]
	v_mov_b32_e32 v109, v1
	s_delay_alu instid0(VALU_DEP_3)
	v_fmac_f32_e32 v19, v29, v107
	s_wait_loadcnt 0x0
	scratch_load_b128 v[104:107], off, off offset:3860 ; 16-byte Folded Reload
	v_pk_fma_f32 v[40:41], v[28:29], v[102:103], v[40:41] op_sel:[1,0,0]
	s_clause 0x2
	scratch_load_b64 v[42:43], off, off offset:3556
	scratch_load_b64 v[102:103], off, off offset:3580
	scratch_store_b32 off, v3, off offset:1664
	s_wait_loadcnt 0x2
	v_fma_f32 v13, v28, v104, v107
	v_mov_b32_e32 v107, v0
	s_wait_loadcnt 0x0
	v_pk_fma_f32 v[42:43], v[28:29], v[42:43], v[102:103] op_sel_hi:[0,1,1]
	s_delay_alu instid0(VALU_DEP_2)
	v_dual_fmac_f32 v107, v30, v2 :: v_dual_fmac_f32 v13, v29, v105
	scratch_load_b128 v[102:105], off, off offset:3564 ; 16-byte Folded Reload
	v_fmac_f32_e32 v13, v30, v106
	s_wait_loadcnt 0x0
	v_pk_fma_f32 v[28:29], v[28:29], v[102:103], v[42:43] op_sel:[1,0,0]
	s_clause 0x1
	scratch_load_b128 v[102:105], off, off offset:2276
	scratch_load_b128 v[42:45], off, off offset:1788
	s_wait_loadcnt 0x1
	v_pk_fma_f32 v[74:75], v[30:31], v[104:105], v[96:97] op_sel_hi:[0,1,1]
	s_clause 0x1
	scratch_load_b128 v[102:105], off, off offset:2244
	scratch_load_b64 v[0:1], off, off offset:1668 th:TH_LOAD_LU
	s_wait_loadcnt 0x2
	v_dual_fmac_f32 v90, v30, v44 :: v_dual_fmac_f32 v15, v30, v14
	s_delay_alu instid0(VALU_DEP_1)
	v_mov_b32_e32 v43, v90
	v_dual_fmac_f32 v77, v30, v18 :: v_dual_fmac_f32 v19, v30, v108
	s_wait_loadcnt 0x0
	v_pk_fma_f32 v[82:83], v[30:31], v[104:105], v[0:1] op_sel_hi:[0,1,1]
	scratch_load_b128 v[0:3], off, off offset:2212 ; 16-byte Folded Reload
	s_wait_loadcnt 0x0
	scratch_load_b64 v[0:1], off, off offset:1676 th:TH_LOAD_LU ; 8-byte Folded Reload
	s_wait_loadcnt 0x0
	v_pk_fma_f32 v[44:45], v[30:31], v[2:3], v[0:1] op_sel_hi:[0,1,1]
	scratch_load_b128 v[0:3], off, off offset:1804 ; 16-byte Folded Reload
	s_wait_loadcnt 0x0
	v_fmac_f32_e32 v109, v30, v2
	scratch_load_b128 v[0:3], off, off offset:2180 ; 16-byte Folded Reload
	s_wait_loadcnt 0x0
	scratch_load_b64 v[0:1], off, off offset:1684 th:TH_LOAD_LU ; 8-byte Folded Reload
	s_wait_loadcnt 0x0
	v_pk_fma_f32 v[90:91], v[30:31], v[2:3], v[0:1] op_sel_hi:[0,1,1]
	scratch_load_b128 v[0:3], off, off offset:1820 ; 16-byte Folded Reload
	s_wait_loadcnt 0x0
	v_fmac_f32_e32 v11, v30, v2
	scratch_load_b128 v[0:3], off, off offset:2148 ; 16-byte Folded Reload
	s_wait_loadcnt 0x0
	scratch_load_b64 v[0:1], off, off offset:1692 th:TH_LOAD_LU ; 8-byte Folded Reload
	v_dual_fmac_f32 v47, v30, v26 :: v_dual_mov_b32 v14, v11
	s_wait_loadcnt 0x0
	v_pk_fma_f32 v[96:97], v[30:31], v[2:3], v[0:1] op_sel_hi:[0,1,1]
	scratch_load_b128 v[0:3], off, off offset:1836 ; 16-byte Folded Reload
	s_wait_loadcnt 0x0
	v_fmac_f32_e32 v27, v30, v2
	scratch_load_b128 v[0:3], off, off offset:2116 ; 16-byte Folded Reload
	s_wait_loadcnt 0x0
	scratch_load_b64 v[0:1], off, off offset:1700 th:TH_LOAD_LU ; 8-byte Folded Reload
	s_wait_loadcnt 0x0
	v_pk_fma_f32 v[122:123], v[30:31], v[2:3], v[0:1] op_sel_hi:[0,1,1]
	scratch_load_b128 v[0:3], off, off offset:1852 ; 16-byte Folded Reload
	s_wait_loadcnt 0x0
	v_fmac_f32_e32 v81, v30, v2
	scratch_load_b128 v[0:3], off, off offset:2084 ; 16-byte Folded Reload
	s_wait_loadcnt 0x0
	scratch_load_b64 v[0:1], off, off offset:1708 th:TH_LOAD_LU ; 8-byte Folded Reload
	v_dual_fmac_f32 v35, v30, v34 :: v_dual_mov_b32 v18, v27
	s_wait_loadcnt 0x0
	v_pk_fma_f32 v[78:79], v[30:31], v[2:3], v[0:1] op_sel_hi:[0,1,1]
	scratch_load_b128 v[0:3], off, off offset:1868 ; 16-byte Folded Reload
	s_wait_loadcnt 0x0
	v_fmac_f32_e32 v66, v30, v2
	scratch_load_b128 v[0:3], off, off offset:2052 ; 16-byte Folded Reload
	s_wait_loadcnt 0x0
	scratch_load_b64 v[0:1], off, off offset:1716 th:TH_LOAD_LU ; 8-byte Folded Reload
	s_wait_loadcnt 0x0
	v_pk_fma_f32 v[0:1], v[30:31], v[2:3], v[0:1] op_sel_hi:[0,1,1]
	s_clause 0x1
	scratch_store_b64 off, v[0:1], off offset:1668
	scratch_load_b128 v[0:3], off, off offset:1772
	s_wait_loadcnt 0x0
	v_fmac_f32_e32 v69, v30, v2
	scratch_load_b128 v[0:3], off, off offset:2308 ; 16-byte Folded Reload
	s_wait_loadcnt 0x0
	scratch_load_b64 v[0:1], off, off offset:1724 th:TH_LOAD_LU ; 8-byte Folded Reload
	v_mov_b32_e32 v34, v66
	s_wait_loadcnt 0x0
	v_pk_fma_f32 v[0:1], v[30:31], v[2:3], v[0:1] op_sel_hi:[0,1,1]
	s_clause 0x1
	scratch_store_b64 off, v[0:1], off offset:1676
	scratch_load_b128 v[0:3], off, off offset:1884
	s_wait_loadcnt 0x0
	v_fmac_f32_e32 v61, v30, v2
	scratch_load_b128 v[0:3], off, off offset:2340 ; 16-byte Folded Reload
	s_wait_loadcnt 0x0
	scratch_load_b64 v[0:1], off, off offset:1732 th:TH_LOAD_LU ; 8-byte Folded Reload
	s_wait_loadcnt 0x0
	v_pk_fma_f32 v[0:1], v[30:31], v[2:3], v[0:1] op_sel_hi:[0,1,1]
	s_clause 0x1
	scratch_store_b64 off, v[0:1], off offset:1684
	scratch_load_b128 v[0:3], off, off offset:1900
	s_wait_loadcnt 0x0
	v_fmac_f32_e32 v67, v30, v2
	scratch_load_b128 v[0:3], off, off offset:2532 ; 16-byte Folded Reload
	s_wait_loadcnt 0x0
	scratch_load_b64 v[0:1], off, off offset:1740 th:TH_LOAD_LU ; 8-byte Folded Reload
	v_fmac_f32_e32 v85, v30, v46
	v_dual_fmac_f32 v76, v30, v54 :: v_dual_mov_b32 v46, v67
	s_wait_loadcnt 0x0
	v_pk_fma_f32 v[0:1], v[30:31], v[2:3], v[0:1] op_sel_hi:[0,1,1]
	s_clause 0x1
	scratch_store_b64 off, v[0:1], off offset:1692
	scratch_load_b128 v[0:3], off, off offset:1916
	s_wait_loadcnt 0x0
	v_fmac_f32_e32 v60, v30, v2
	scratch_load_b128 v[0:3], off, off offset:2572 ; 16-byte Folded Reload
	s_wait_loadcnt 0x0
	scratch_load_b64 v[0:1], off, off offset:1748 th:TH_LOAD_LU ; 8-byte Folded Reload
	s_wait_loadcnt 0x0
	v_pk_fma_f32 v[0:1], v[30:31], v[2:3], v[0:1] op_sel_hi:[0,1,1]
	s_clause 0x1
	scratch_store_b64 off, v[0:1], off offset:1700
	scratch_load_b128 v[0:3], off, off offset:1932
	s_wait_loadcnt 0x0
	v_fmac_f32_e32 v6, v30, v2
	scratch_load_b128 v[0:3], off, off offset:2628 ; 16-byte Folded Reload
	s_wait_loadcnt 0x0
	scratch_load_b64 v[0:1], off, off offset:1756 th:TH_LOAD_LU ; 8-byte Folded Reload
	v_fmac_f32_e32 v51, v30, v50
	v_mov_b32_e32 v50, v6
	s_wait_loadcnt 0x0
	v_pk_fma_f32 v[0:1], v[30:31], v[2:3], v[0:1] op_sel_hi:[0,1,1]
	s_clause 0x1
	scratch_store_b64 off, v[0:1], off offset:1708
	scratch_load_b128 v[0:3], off, off offset:1948
	s_wait_loadcnt 0x0
	v_fmac_f32_e32 v121, v30, v2
	scratch_load_b128 v[0:3], off, off offset:2668 ; 16-byte Folded Reload
	s_wait_loadcnt 0x0
	scratch_load_b64 v[0:1], off, off offset:1764 th:TH_LOAD_LU ; 8-byte Folded Reload
	s_wait_loadcnt 0x0
	v_pk_fma_f32 v[0:1], v[30:31], v[2:3], v[0:1] op_sel_hi:[0,1,1]
	s_clause 0x1
	scratch_store_b64 off, v[0:1], off offset:1716
	scratch_load_b128 v[0:3], off, off offset:1964
	s_wait_loadcnt 0x0
	v_fmac_f32_e32 v4, v30, v2
	scratch_load_b128 v[0:3], off, off offset:2724 ; 16-byte Folded Reload
	s_wait_loadcnt 0x0
	scratch_load_b64 v[0:1], off, off offset:1996 th:TH_LOAD_LU ; 8-byte Folded Reload
	v_mov_b32_e32 v42, v4
	s_wait_loadcnt 0x0
	v_pk_fma_f32 v[0:1], v[30:31], v[2:3], v[0:1] op_sel_hi:[0,1,1]
	s_clause 0x1
	scratch_store_b64 off, v[0:1], off offset:1724
	scratch_load_b128 v[0:3], off, off offset:1980
	s_wait_loadcnt 0x0
	v_dual_mov_b32 v12, v117 :: v_dual_fmac_f32 v127, v30, v2
	scratch_load_b128 v[0:3], off, off offset:2764 ; 16-byte Folded Reload
	s_wait_loadcnt 0x0
	scratch_load_b64 v[0:1], off, off offset:2004 th:TH_LOAD_LU ; 8-byte Folded Reload
	v_dual_fmac_f32 v7, v30, v126 :: v_dual_fmac_f32 v12, v30, v116
	s_delay_alu instid0(VALU_DEP_1)
	v_mov_b32_e32 v126, v7
	s_wait_loadcnt 0x0
	v_pk_fma_f32 v[0:1], v[30:31], v[2:3], v[0:1] op_sel_hi:[0,1,1]
	s_clause 0x1
	scratch_store_b64 off, v[0:1], off offset:1732
	scratch_load_b128 v[0:3], off, off offset:2820
	s_wait_loadcnt 0x0
	scratch_load_b64 v[0:1], off, off offset:2012 th:TH_LOAD_LU ; 8-byte Folded Reload
	s_wait_loadcnt 0x0
	v_pk_fma_f32 v[0:1], v[30:31], v[2:3], v[0:1] op_sel_hi:[0,1,1]
	s_clause 0x1
	scratch_store_b64 off, v[0:1], off offset:1740
	scratch_load_b128 v[0:3], off, off offset:2860
	s_wait_loadcnt 0x0
	scratch_load_b64 v[0:1], off, off offset:2020 th:TH_LOAD_LU ; 8-byte Folded Reload
	;; [unrolled: 7-line block ×5, first 2 shown]
	s_wait_loadcnt 0x0
	v_pk_fma_f32 v[0:1], v[30:31], v[2:3], v[0:1] op_sel_hi:[0,1,1]
	scratch_load_b128 v[2:5], off, off offset:3052 ; 16-byte Folded Reload
	s_wait_loadcnt 0x0
	v_pk_fma_f32 v[2:3], v[30:31], v[4:5], v[124:125] op_sel_hi:[0,1,1]
	scratch_load_b128 v[4:7], off, off offset:3108 ; 16-byte Folded Reload
	;; [unrolled: 3-line block ×6, first 2 shown]
	v_dual_mov_b32 v49, v60 :: v_dual_mov_b32 v48, v61
	s_wait_loadcnt 0x0
	v_pk_fma_f32 v[118:119], v[30:31], v[6:7], v[24:25] op_sel_hi:[0,1,1]
	scratch_load_b128 v[4:7], off, off offset:3340 ; 16-byte Folded Reload
	s_wait_loadcnt 0x0
	v_pk_fma_f32 v[66:67], v[30:31], v[6:7], v[32:33] op_sel_hi:[0,1,1]
	scratch_load_b128 v[4:7], off, off offset:3396 ; 16-byte Folded Reload
	;; [unrolled: 3-line block ×5, first 2 shown]
	s_wait_loadcnt 0x0
	v_pk_fma_f32 v[60:61], v[30:31], v[10:11], v[28:29] op_sel_hi:[0,1,1]
	global_load_b128 v[28:31], v31, s[6:7] scale_offset
	s_wait_loadcnt 0x0
	v_readfirstlane_b32 s20, v30
	v_readfirstlane_b32 s0, v28
	s_cmp_gt_f32 s20, 0
	s_cselect_b32 s21, -1, 0
	s_cmp_eq_u32 s0, 0x46
	s_cselect_b32 s22, -1, 0
	s_cmp_eq_u32 s0, 0x45
	s_cselect_b32 s23, -1, 0
	s_cmp_lt_f32 s20, 0
	s_cselect_b32 s24, -1, 0
	s_delay_alu instid0(SALU_CYCLE_1)
	s_and_b32 s0, s24, exec_lo
	s_cselect_b32 s27, 0x40b00000, 1.0
	s_cselect_b32 s28, 1.0, 0xff7fffff
	s_xor_b32 s29, s20, 0x80000000
.LBB5_28:                               ;   Parent Loop BB5_27 Depth=1
                                        ; =>  This Inner Loop Header: Depth=2
	v_mov_b32_e32 v8, 0
	global_load_b128 v[114:117], v8, s[14:15] offset:-8
	s_wait_xcnt 0x0
	s_add_nc_u64 s[14:15], s[14:15], 16
	s_wait_loadcnt 0x0
	global_load_b128 v[8:11], v117, s[6:7] scale_offset
	s_wait_loadcnt 0x0
	v_readfirstlane_b32 s1, v10
	v_add_f32_e32 v10, v29, v9
	v_readfirstlane_b32 s0, v8
	v_mul_f32_e32 v30, v31, v11
	s_delay_alu instid0(VALU_DEP_3)
	v_div_scale_f32 v8, null, v10, v10, 1.0
	s_cmp_eq_u32 s0, 0x46
	s_cselect_b32 s3, -1, 0
	v_xor_b32_e32 v9, 0x80000000, v8
	v_rcp_f32_e32 v8, v8
	s_and_b32 s3, s3, s22
	s_delay_alu instid0(SALU_CYCLE_1)
	s_and_b32 s3, s3, exec_lo
	s_cselect_b32 s34, 4.0, 2.0
	s_cselect_b32 s18, 0x3e800000, 0.5
	s_cmp_eq_u32 s0, 0x45
	v_nop
	v_fma_f32 v24, v9, v8, 1.0
	s_cselect_b32 s0, -1, 0
	s_delay_alu instid0(SALU_CYCLE_1) | instskip(SKIP_1) | instid1(VALU_DEP_1)
	s_or_b32 s33, s0, s23
	s_cmp_gt_f32 s1, 0
	v_fmac_f32_e32 v8, v24, v8
	v_div_scale_f32 v24, vcc_lo, 1.0, v10, 1.0
	s_cselect_b32 s0, -1, 0
	s_cmp_neq_f32 s1, 0
	v_mul_f32_e32 v25, v24, v8
	s_cselect_b32 s30, -1, 0
	s_cmp_lt_f32 s1, 0
	s_delay_alu instid0(VALU_DEP_1) | instskip(SKIP_1) | instid1(SALU_CYCLE_1)
	v_fma_f32 v26, v9, v25, v24
	s_cselect_b32 s3, -1, 0
	s_and_b32 s16, s3, exec_lo
	s_delay_alu instid0(VALU_DEP_1)
	v_fmac_f32_e32 v25, v26, v8
	s_cselect_b32 s31, s27, s28
	s_and_b32 s3, s3, s21
	s_xor_b32 s16, s1, 0x80000000
	s_and_b32 s3, s3, exec_lo
	v_fmac_f32_e32 v24, v9, v25
	v_div_scale_f32 v9, null, s31, s31, 1.0
	s_cselect_b32 s1, s16, s1
	s_and_b32 s0, s0, s24
	v_div_fmas_f32 v8, v24, v8, v25
	v_xor_b32_e32 v24, 0x80000000, v9
	v_rcp_f32_e32 v9, v9
	s_and_b32 s0, s0, exec_lo
	s_cselect_b32 s0, s29, s20
	v_div_fixup_f32 v8, v8, v10, 1.0
	s_add_f32 s16, s1, s0
	s_add_co_i32 s25, s25, -1
	s_delay_alu instid0(TRANS32_DEP_1) | instskip(NEXT) | instid1(VALU_DEP_1)
	v_fma_f32 v25, v24, v9, 1.0
	v_fmac_f32_e32 v9, v25, v9
	v_div_scale_f32 v25, vcc_lo, 1.0, s31, 1.0
	s_delay_alu instid0(VALU_DEP_1) | instskip(NEXT) | instid1(VALU_DEP_1)
	v_mul_f32_e32 v26, v25, v9
	v_fma_f32 v27, v24, v26, v25
	s_delay_alu instid0(VALU_DEP_1) | instskip(NEXT) | instid1(VALU_DEP_1)
	v_fmac_f32_e32 v26, v27, v9
	v_dual_fmac_f32 v25, v24, v26 :: v_dual_mov_b32 v24, v114
	s_delay_alu instid0(VALU_DEP_1) | instskip(SKIP_1) | instid1(VALU_DEP_2)
	v_div_fmas_f32 v9, v25, v9, v26
	v_mov_b32_e32 v25, v116
	v_div_fixup_f32 v28, v9, s31, 1.0
	scratch_load_b32 v9, off, off offset:1664 ; 4-byte Folded Reload
	v_pk_add_f32 v[26:27], v[74:75], v[24:25] neg_lo:[0,1] neg_hi:[0,1]
	v_pk_add_f32 v[36:37], v[82:83], v[24:25] neg_lo:[0,1] neg_hi:[0,1]
	s_delay_alu instid0(VALU_DEP_2) | instskip(NEXT) | instid1(VALU_DEP_2)
	v_pk_mul_f32 v[26:27], v[26:27], v[26:27]
	v_pk_mul_f32 v[36:37], v[36:37], v[36:37]
	s_wait_loadcnt 0x0
	v_sub_f32_e32 v9, v9, v115
	s_delay_alu instid0(VALU_DEP_1) | instskip(NEXT) | instid1(VALU_DEP_1)
	v_fma_f32 v9, v9, v9, v26
	v_add_f32_e32 v9, v9, v27
	s_delay_alu instid0(VALU_DEP_1) | instskip(SKIP_1) | instid1(VALU_DEP_1)
	v_cmp_gt_f32_e32 vcc_lo, 0xf800000, v9
	v_mul_f32_e32 v11, 0x4f800000, v9
	v_cndmask_b32_e32 v9, v9, v11, vcc_lo
	s_delay_alu instid0(VALU_DEP_1) | instskip(SKIP_1) | instid1(TRANS32_DEP_1)
	v_sqrt_f32_e32 v11, v9
	v_nop
	v_add_nc_u32_e32 v26, -1, v11
	s_delay_alu instid0(VALU_DEP_1) | instskip(NEXT) | instid1(VALU_DEP_1)
	v_fma_f32 v27, -v26, v11, v9
	v_cmp_ge_f32_e64 s0, 0, v27
	s_delay_alu instid0(VALU_DEP_1) | instskip(NEXT) | instid1(VALU_DEP_1)
	v_dual_add_nc_u32 v27, 1, v11 :: v_dual_cndmask_b32 v26, v11, v26, s0
	v_fma_f32 v11, -v27, v11, v9
	s_delay_alu instid0(VALU_DEP_1) | instskip(NEXT) | instid1(VALU_DEP_1)
	v_cmp_lt_f32_e64 s0, 0, v11
	v_cndmask_b32_e64 v11, v26, v27, s0
	s_delay_alu instid0(VALU_DEP_1) | instskip(NEXT) | instid1(VALU_DEP_1)
	v_mul_f32_e32 v26, 0x37800000, v11
	v_cndmask_b32_e32 v11, v11, v26, vcc_lo
	v_cmp_class_f32_e64 vcc_lo, v9, 0x260
	s_delay_alu instid0(VALU_DEP_2) | instskip(SKIP_1) | instid1(VALU_DEP_1)
	v_cndmask_b32_e32 v26, v11, v9, vcc_lo
	v_sub_f32_e32 v9, v43, v115
	v_fma_f32 v9, v9, v9, v36
	s_delay_alu instid0(VALU_DEP_1) | instskip(NEXT) | instid1(VALU_DEP_1)
	v_add_f32_e32 v9, v9, v37
	v_cmp_gt_f32_e32 vcc_lo, 0xf800000, v9
	v_mul_f32_e32 v11, 0x4f800000, v9
	s_delay_alu instid0(VALU_DEP_1) | instskip(NEXT) | instid1(VALU_DEP_1)
	v_cndmask_b32_e32 v9, v9, v11, vcc_lo
	v_sqrt_f32_e32 v11, v9
	v_nop
	s_delay_alu instid0(TRANS32_DEP_1) | instskip(NEXT) | instid1(VALU_DEP_1)
	v_add_nc_u32_e32 v27, -1, v11
	v_fma_f32 v36, -v27, v11, v9
	s_delay_alu instid0(VALU_DEP_1) | instskip(SKIP_1) | instid1(VALU_DEP_2)
	v_cmp_ge_f32_e64 s0, 0, v36
	v_add_nc_u32_e32 v36, 1, v11
	v_cndmask_b32_e64 v27, v11, v27, s0
	s_delay_alu instid0(VALU_DEP_2) | instskip(NEXT) | instid1(VALU_DEP_1)
	v_fma_f32 v11, -v36, v11, v9
	v_cmp_lt_f32_e64 s0, 0, v11
	s_delay_alu instid0(VALU_DEP_1) | instskip(NEXT) | instid1(VALU_DEP_1)
	v_cndmask_b32_e64 v11, v27, v36, s0
	v_mul_f32_e32 v27, 0x37800000, v11
	s_delay_alu instid0(VALU_DEP_1) | instskip(SKIP_1) | instid1(VALU_DEP_2)
	v_cndmask_b32_e32 v11, v11, v27, vcc_lo
	v_cmp_class_f32_e64 vcc_lo, v9, 0x260
	v_cndmask_b32_e32 v27, v11, v9, vcc_lo
	s_delay_alu instid0(VALU_DEP_1) | instskip(SKIP_2) | instid1(VALU_DEP_3)
	v_pk_add_f32 v[36:37], v[26:27], v[10:11] op_sel_hi:[1,0] neg_lo:[0,1] neg_hi:[0,1]
	v_pk_fma_f32 v[26:27], v[8:9], v[26:27], 1.0 op_sel_hi:[0,1,0] neg_lo:[1,0,0] neg_hi:[1,0,0]
	v_sub_f32_e32 v9, v107, v115
	v_cmp_gt_f32_e32 vcc_lo, 0, v36
	s_delay_alu instid0(VALU_DEP_4) | instskip(SKIP_3) | instid1(VALU_DEP_4)
	v_cmp_gt_f32_e64 s0, 0, v37
	v_cmp_gt_f32_e64 s1, s34, v36
	;; [unrolled: 1-line block ×3, first 2 shown]
	v_cndmask_b32_e64 v38, 0, 0x42980000, vcc_lo
	v_cndmask_b32_e64 v39, 0, 0x42980000, s0
	s_delay_alu instid0(VALU_DEP_4) | instskip(NEXT) | instid1(VALU_DEP_4)
	v_cndmask_b32_e64 v40, 0, 1.0, s1
	v_cndmask_b32_e64 v41, 0, 1.0, s3
	v_cmp_gt_f32_e64 s1, s31, v37
	v_cmp_gt_f32_e64 s3, s31, v36
	v_pk_fma_f32 v[26:27], v[26:27], v[38:39], v[98:99]
	v_pk_fma_f32 v[38:39], s[18:19], v[36:37], 1.0 op_sel_hi:[0,1,0] neg_lo:[1,0,0] neg_hi:[1,0,0]
	s_and_b32 s1, s30, s1
	s_and_b32 s3, s30, s3
	s_delay_alu instid0(VALU_DEP_1) | instskip(NEXT) | instid1(VALU_DEP_2)
	v_cndmask_b32_e64 v39, v39, 1.0, s0
	v_cndmask_b32_e64 v38, v38, 1.0, vcc_lo
	s_delay_alu instid0(VALU_DEP_1) | instskip(NEXT) | instid1(VALU_DEP_1)
	v_pk_mul_f32 v[38:39], v[40:41], v[38:39]
	v_pk_mul_f32 v[38:39], v[30:31], v[38:39] op_sel_hi:[0,1]
	s_delay_alu instid0(VALU_DEP_1) | instskip(NEXT) | instid1(VALU_DEP_2)
	v_cndmask_b32_e64 v39, v39, -|v39|, s33
	v_cndmask_b32_e64 v38, v38, -|v38|, s33
	s_delay_alu instid0(VALU_DEP_1) | instskip(SKIP_3) | instid1(VALU_DEP_3)
	v_pk_fma_f32 v[26:27], v[38:39], s[12:13], v[26:27] op_sel_hi:[1,0,1]
	v_pk_fma_f32 v[38:39], v[28:29], v[36:37], 1.0 op_sel_hi:[0,1,0] neg_lo:[1,0,0] neg_hi:[1,0,0]
	v_cndmask_b32_e64 v37, 0, 1.0, s1
	v_cndmask_b32_e64 v36, 0, 1.0, s3
	;; [unrolled: 1-line block ×3, first 2 shown]
	s_delay_alu instid0(VALU_DEP_4) | instskip(NEXT) | instid1(VALU_DEP_3)
	v_cndmask_b32_e64 v38, v38, 1.0, vcc_lo
	v_pk_mul_f32 v[36:37], s[16:17], v[36:37] op_sel_hi:[0,1]
	s_delay_alu instid0(VALU_DEP_1) | instskip(SKIP_2) | instid1(VALU_DEP_2)
	v_pk_fma_f32 v[98:99], v[38:39], v[36:37], v[26:27]
	v_pk_add_f32 v[26:27], v[44:45], v[24:25] neg_lo:[0,1] neg_hi:[0,1]
	v_pk_add_f32 v[36:37], v[90:91], v[24:25] neg_lo:[0,1] neg_hi:[0,1]
	v_pk_mul_f32 v[26:27], v[26:27], v[26:27]
	s_delay_alu instid0(VALU_DEP_2) | instskip(NEXT) | instid1(VALU_DEP_2)
	v_pk_mul_f32 v[36:37], v[36:37], v[36:37]
	v_fma_f32 v9, v9, v9, v26
	s_delay_alu instid0(VALU_DEP_1) | instskip(NEXT) | instid1(VALU_DEP_1)
	v_add_f32_e32 v9, v9, v27
	v_cmp_gt_f32_e32 vcc_lo, 0xf800000, v9
	v_mul_f32_e32 v11, 0x4f800000, v9
	s_delay_alu instid0(VALU_DEP_1) | instskip(NEXT) | instid1(VALU_DEP_1)
	v_cndmask_b32_e32 v9, v9, v11, vcc_lo
	v_sqrt_f32_e32 v11, v9
	v_nop
	s_delay_alu instid0(TRANS32_DEP_1) | instskip(NEXT) | instid1(VALU_DEP_1)
	v_add_nc_u32_e32 v26, -1, v11
	v_fma_f32 v27, -v26, v11, v9
	s_delay_alu instid0(VALU_DEP_1) | instskip(NEXT) | instid1(VALU_DEP_1)
	v_cmp_ge_f32_e64 s0, 0, v27
	v_dual_add_nc_u32 v27, 1, v11 :: v_dual_cndmask_b32 v26, v11, v26, s0
	s_delay_alu instid0(VALU_DEP_1) | instskip(NEXT) | instid1(VALU_DEP_1)
	v_fma_f32 v11, -v27, v11, v9
	v_cmp_lt_f32_e64 s0, 0, v11
	s_delay_alu instid0(VALU_DEP_1) | instskip(NEXT) | instid1(VALU_DEP_1)
	v_cndmask_b32_e64 v11, v26, v27, s0
	v_mul_f32_e32 v26, 0x37800000, v11
	s_delay_alu instid0(VALU_DEP_1) | instskip(SKIP_1) | instid1(VALU_DEP_2)
	v_cndmask_b32_e32 v11, v11, v26, vcc_lo
	v_cmp_class_f32_e64 vcc_lo, v9, 0x260
	v_dual_cndmask_b32 v26, v11, v9 :: v_dual_sub_f32 v9, v109, v115
	s_delay_alu instid0(VALU_DEP_1) | instskip(NEXT) | instid1(VALU_DEP_1)
	v_fma_f32 v9, v9, v9, v36
	v_add_f32_e32 v9, v9, v37
	s_delay_alu instid0(VALU_DEP_1) | instskip(SKIP_1) | instid1(VALU_DEP_1)
	v_cmp_gt_f32_e32 vcc_lo, 0xf800000, v9
	v_mul_f32_e32 v11, 0x4f800000, v9
	v_cndmask_b32_e32 v9, v9, v11, vcc_lo
	s_delay_alu instid0(VALU_DEP_1) | instskip(SKIP_1) | instid1(TRANS32_DEP_1)
	v_sqrt_f32_e32 v11, v9
	v_nop
	v_add_nc_u32_e32 v27, -1, v11
	s_delay_alu instid0(VALU_DEP_1) | instskip(NEXT) | instid1(VALU_DEP_1)
	v_fma_f32 v36, -v27, v11, v9
	v_cmp_ge_f32_e64 s0, 0, v36
	v_add_nc_u32_e32 v36, 1, v11
	s_delay_alu instid0(VALU_DEP_2) | instskip(NEXT) | instid1(VALU_DEP_2)
	v_cndmask_b32_e64 v27, v11, v27, s0
	v_fma_f32 v11, -v36, v11, v9
	s_delay_alu instid0(VALU_DEP_1) | instskip(NEXT) | instid1(VALU_DEP_1)
	v_cmp_lt_f32_e64 s0, 0, v11
	v_cndmask_b32_e64 v11, v27, v36, s0
	s_delay_alu instid0(VALU_DEP_1) | instskip(NEXT) | instid1(VALU_DEP_1)
	v_mul_f32_e32 v27, 0x37800000, v11
	v_cndmask_b32_e32 v11, v11, v27, vcc_lo
	v_cmp_class_f32_e64 vcc_lo, v9, 0x260
	s_delay_alu instid0(VALU_DEP_2) | instskip(NEXT) | instid1(VALU_DEP_1)
	v_cndmask_b32_e32 v27, v11, v9, vcc_lo
	v_pk_add_f32 v[36:37], v[26:27], v[10:11] op_sel_hi:[1,0] neg_lo:[0,1] neg_hi:[0,1]
	v_pk_fma_f32 v[26:27], v[8:9], v[26:27], 1.0 op_sel_hi:[0,1,0] neg_lo:[1,0,0] neg_hi:[1,0,0]
	v_sub_f32_e32 v9, v14, v115
	s_delay_alu instid0(VALU_DEP_3) | instskip(NEXT) | instid1(VALU_DEP_4)
	v_cmp_gt_f32_e32 vcc_lo, 0, v36
	v_cmp_gt_f32_e64 s0, 0, v37
	v_cmp_gt_f32_e64 s1, s34, v36
	;; [unrolled: 1-line block ×3, first 2 shown]
	v_cndmask_b32_e64 v38, 0, 0x42980000, vcc_lo
	s_delay_alu instid0(VALU_DEP_4) | instskip(NEXT) | instid1(VALU_DEP_4)
	v_cndmask_b32_e64 v39, 0, 0x42980000, s0
	v_cndmask_b32_e64 v40, 0, 1.0, s1
	s_delay_alu instid0(VALU_DEP_4)
	v_cndmask_b32_e64 v41, 0, 1.0, s3
	v_cmp_gt_f32_e64 s1, s31, v37
	v_cmp_gt_f32_e64 s3, s31, v36
	v_pk_fma_f32 v[26:27], v[26:27], v[38:39], v[100:101]
	v_pk_fma_f32 v[38:39], s[18:19], v[36:37], 1.0 op_sel_hi:[0,1,0] neg_lo:[1,0,0] neg_hi:[1,0,0]
	s_and_b32 s1, s30, s1
	s_and_b32 s3, s30, s3
	s_delay_alu instid0(VALU_DEP_1) | instskip(NEXT) | instid1(VALU_DEP_2)
	v_cndmask_b32_e64 v39, v39, 1.0, s0
	v_cndmask_b32_e64 v38, v38, 1.0, vcc_lo
	s_delay_alu instid0(VALU_DEP_1) | instskip(NEXT) | instid1(VALU_DEP_1)
	v_pk_mul_f32 v[38:39], v[40:41], v[38:39]
	v_pk_mul_f32 v[38:39], v[30:31], v[38:39] op_sel_hi:[0,1]
	s_delay_alu instid0(VALU_DEP_1) | instskip(NEXT) | instid1(VALU_DEP_2)
	v_cndmask_b32_e64 v39, v39, -|v39|, s33
	v_cndmask_b32_e64 v38, v38, -|v38|, s33
	s_delay_alu instid0(VALU_DEP_1) | instskip(SKIP_3) | instid1(VALU_DEP_3)
	v_pk_fma_f32 v[26:27], v[38:39], s[12:13], v[26:27] op_sel_hi:[1,0,1]
	v_pk_fma_f32 v[38:39], v[28:29], v[36:37], 1.0 op_sel_hi:[0,1,0] neg_lo:[1,0,0] neg_hi:[1,0,0]
	v_cndmask_b32_e64 v37, 0, 1.0, s1
	v_cndmask_b32_e64 v36, 0, 1.0, s3
	;; [unrolled: 1-line block ×3, first 2 shown]
	s_delay_alu instid0(VALU_DEP_4) | instskip(NEXT) | instid1(VALU_DEP_3)
	v_cndmask_b32_e64 v38, v38, 1.0, vcc_lo
	v_pk_mul_f32 v[36:37], s[16:17], v[36:37] op_sel_hi:[0,1]
	s_delay_alu instid0(VALU_DEP_1) | instskip(SKIP_2) | instid1(VALU_DEP_2)
	v_pk_fma_f32 v[100:101], v[38:39], v[36:37], v[26:27]
	v_pk_add_f32 v[26:27], v[96:97], v[24:25] neg_lo:[0,1] neg_hi:[0,1]
	v_pk_add_f32 v[36:37], v[122:123], v[24:25] neg_lo:[0,1] neg_hi:[0,1]
	v_pk_mul_f32 v[26:27], v[26:27], v[26:27]
	s_delay_alu instid0(VALU_DEP_2) | instskip(NEXT) | instid1(VALU_DEP_2)
	v_pk_mul_f32 v[36:37], v[36:37], v[36:37]
	v_fma_f32 v9, v9, v9, v26
	s_delay_alu instid0(VALU_DEP_1) | instskip(NEXT) | instid1(VALU_DEP_1)
	v_add_f32_e32 v9, v9, v27
	v_cmp_gt_f32_e32 vcc_lo, 0xf800000, v9
	v_mul_f32_e32 v11, 0x4f800000, v9
	s_delay_alu instid0(VALU_DEP_1) | instskip(NEXT) | instid1(VALU_DEP_1)
	v_cndmask_b32_e32 v9, v9, v11, vcc_lo
	v_sqrt_f32_e32 v11, v9
	v_nop
	s_delay_alu instid0(TRANS32_DEP_1) | instskip(NEXT) | instid1(VALU_DEP_1)
	v_add_nc_u32_e32 v26, -1, v11
	v_fma_f32 v27, -v26, v11, v9
	s_delay_alu instid0(VALU_DEP_1) | instskip(NEXT) | instid1(VALU_DEP_1)
	v_cmp_ge_f32_e64 s0, 0, v27
	v_dual_add_nc_u32 v27, 1, v11 :: v_dual_cndmask_b32 v26, v11, v26, s0
	s_delay_alu instid0(VALU_DEP_1) | instskip(NEXT) | instid1(VALU_DEP_1)
	v_fma_f32 v11, -v27, v11, v9
	v_cmp_lt_f32_e64 s0, 0, v11
	s_delay_alu instid0(VALU_DEP_1) | instskip(NEXT) | instid1(VALU_DEP_1)
	v_cndmask_b32_e64 v11, v26, v27, s0
	v_mul_f32_e32 v26, 0x37800000, v11
	s_delay_alu instid0(VALU_DEP_1) | instskip(SKIP_1) | instid1(VALU_DEP_2)
	v_cndmask_b32_e32 v11, v11, v26, vcc_lo
	v_cmp_class_f32_e64 vcc_lo, v9, 0x260
	v_dual_cndmask_b32 v26, v11, v9 :: v_dual_sub_f32 v9, v18, v115
	s_delay_alu instid0(VALU_DEP_1) | instskip(NEXT) | instid1(VALU_DEP_1)
	v_fma_f32 v9, v9, v9, v36
	v_add_f32_e32 v9, v9, v37
	s_delay_alu instid0(VALU_DEP_1) | instskip(SKIP_1) | instid1(VALU_DEP_1)
	v_cmp_gt_f32_e32 vcc_lo, 0xf800000, v9
	v_mul_f32_e32 v11, 0x4f800000, v9
	v_cndmask_b32_e32 v9, v9, v11, vcc_lo
	s_delay_alu instid0(VALU_DEP_1) | instskip(SKIP_1) | instid1(TRANS32_DEP_1)
	v_sqrt_f32_e32 v11, v9
	v_nop
	v_add_nc_u32_e32 v27, -1, v11
	s_delay_alu instid0(VALU_DEP_1) | instskip(NEXT) | instid1(VALU_DEP_1)
	v_fma_f32 v36, -v27, v11, v9
	v_cmp_ge_f32_e64 s0, 0, v36
	v_add_nc_u32_e32 v36, 1, v11
	s_delay_alu instid0(VALU_DEP_2) | instskip(NEXT) | instid1(VALU_DEP_2)
	v_cndmask_b32_e64 v27, v11, v27, s0
	v_fma_f32 v11, -v36, v11, v9
	s_delay_alu instid0(VALU_DEP_1) | instskip(NEXT) | instid1(VALU_DEP_1)
	v_cmp_lt_f32_e64 s0, 0, v11
	v_cndmask_b32_e64 v11, v27, v36, s0
	s_delay_alu instid0(VALU_DEP_1) | instskip(NEXT) | instid1(VALU_DEP_1)
	v_mul_f32_e32 v27, 0x37800000, v11
	v_cndmask_b32_e32 v11, v11, v27, vcc_lo
	v_cmp_class_f32_e64 vcc_lo, v9, 0x260
	s_delay_alu instid0(VALU_DEP_2) | instskip(NEXT) | instid1(VALU_DEP_1)
	v_cndmask_b32_e32 v27, v11, v9, vcc_lo
	v_pk_add_f32 v[36:37], v[26:27], v[10:11] op_sel_hi:[1,0] neg_lo:[0,1] neg_hi:[0,1]
	v_pk_fma_f32 v[26:27], v[8:9], v[26:27], 1.0 op_sel_hi:[0,1,0] neg_lo:[1,0,0] neg_hi:[1,0,0]
	v_sub_f32_e32 v9, v81, v115
	s_delay_alu instid0(VALU_DEP_3) | instskip(NEXT) | instid1(VALU_DEP_4)
	v_cmp_gt_f32_e32 vcc_lo, 0, v36
	v_cmp_gt_f32_e64 s0, 0, v37
	v_cmp_gt_f32_e64 s1, s34, v36
	;; [unrolled: 1-line block ×3, first 2 shown]
	v_cndmask_b32_e64 v38, 0, 0x42980000, vcc_lo
	s_delay_alu instid0(VALU_DEP_4) | instskip(NEXT) | instid1(VALU_DEP_4)
	v_cndmask_b32_e64 v39, 0, 0x42980000, s0
	v_cndmask_b32_e64 v40, 0, 1.0, s1
	s_delay_alu instid0(VALU_DEP_4)
	v_cndmask_b32_e64 v41, 0, 1.0, s3
	v_cmp_gt_f32_e64 s1, s31, v37
	v_cmp_gt_f32_e64 s3, s31, v36
	v_pk_fma_f32 v[26:27], v[26:27], v[38:39], v[92:93]
	v_pk_fma_f32 v[38:39], s[18:19], v[36:37], 1.0 op_sel_hi:[0,1,0] neg_lo:[1,0,0] neg_hi:[1,0,0]
	s_and_b32 s1, s30, s1
	s_and_b32 s3, s30, s3
	s_delay_alu instid0(VALU_DEP_1) | instskip(NEXT) | instid1(VALU_DEP_2)
	v_cndmask_b32_e64 v39, v39, 1.0, s0
	v_cndmask_b32_e64 v38, v38, 1.0, vcc_lo
	s_delay_alu instid0(VALU_DEP_1) | instskip(NEXT) | instid1(VALU_DEP_1)
	v_pk_mul_f32 v[38:39], v[40:41], v[38:39]
	v_pk_mul_f32 v[38:39], v[30:31], v[38:39] op_sel_hi:[0,1]
	s_delay_alu instid0(VALU_DEP_1) | instskip(NEXT) | instid1(VALU_DEP_2)
	v_cndmask_b32_e64 v39, v39, -|v39|, s33
	v_cndmask_b32_e64 v38, v38, -|v38|, s33
	s_delay_alu instid0(VALU_DEP_1) | instskip(SKIP_3) | instid1(VALU_DEP_3)
	v_pk_fma_f32 v[26:27], v[38:39], s[12:13], v[26:27] op_sel_hi:[1,0,1]
	v_pk_fma_f32 v[38:39], v[28:29], v[36:37], 1.0 op_sel_hi:[0,1,0] neg_lo:[1,0,0] neg_hi:[1,0,0]
	v_cndmask_b32_e64 v37, 0, 1.0, s1
	v_cndmask_b32_e64 v36, 0, 1.0, s3
	;; [unrolled: 1-line block ×3, first 2 shown]
	s_delay_alu instid0(VALU_DEP_4) | instskip(NEXT) | instid1(VALU_DEP_3)
	v_cndmask_b32_e64 v38, v38, 1.0, vcc_lo
	v_pk_mul_f32 v[36:37], s[16:17], v[36:37] op_sel_hi:[0,1]
	s_delay_alu instid0(VALU_DEP_1) | instskip(SKIP_2) | instid1(VALU_DEP_1)
	v_pk_fma_f32 v[92:93], v[38:39], v[36:37], v[26:27]
	scratch_load_b64 v[36:37], off, off offset:1668 ; 8-byte Folded Reload
	v_pk_add_f32 v[26:27], v[78:79], v[24:25] neg_lo:[0,1] neg_hi:[0,1]
	v_pk_mul_f32 v[26:27], v[26:27], v[26:27]
	s_delay_alu instid0(VALU_DEP_1) | instskip(NEXT) | instid1(VALU_DEP_1)
	v_fma_f32 v9, v9, v9, v26
	v_add_f32_e32 v9, v9, v27
	s_delay_alu instid0(VALU_DEP_1) | instskip(SKIP_1) | instid1(VALU_DEP_1)
	v_cmp_gt_f32_e32 vcc_lo, 0xf800000, v9
	v_mul_f32_e32 v11, 0x4f800000, v9
	v_cndmask_b32_e32 v9, v9, v11, vcc_lo
	s_delay_alu instid0(VALU_DEP_1) | instskip(SKIP_1) | instid1(TRANS32_DEP_1)
	v_sqrt_f32_e32 v11, v9
	v_nop
	v_add_nc_u32_e32 v26, -1, v11
	s_delay_alu instid0(VALU_DEP_1) | instskip(NEXT) | instid1(VALU_DEP_1)
	v_fma_f32 v27, -v26, v11, v9
	v_cmp_ge_f32_e64 s0, 0, v27
	s_delay_alu instid0(VALU_DEP_1) | instskip(NEXT) | instid1(VALU_DEP_1)
	v_dual_add_nc_u32 v27, 1, v11 :: v_dual_cndmask_b32 v26, v11, v26, s0
	v_fma_f32 v11, -v27, v11, v9
	s_delay_alu instid0(VALU_DEP_1) | instskip(NEXT) | instid1(VALU_DEP_1)
	v_cmp_lt_f32_e64 s0, 0, v11
	v_cndmask_b32_e64 v11, v26, v27, s0
	s_delay_alu instid0(VALU_DEP_1) | instskip(NEXT) | instid1(VALU_DEP_1)
	v_mul_f32_e32 v26, 0x37800000, v11
	v_cndmask_b32_e32 v11, v11, v26, vcc_lo
	v_cmp_class_f32_e64 vcc_lo, v9, 0x260
	s_delay_alu instid0(VALU_DEP_2) | instskip(SKIP_2) | instid1(VALU_DEP_1)
	v_dual_cndmask_b32 v26, v11, v9 :: v_dual_sub_f32 v9, v34, v115
	s_wait_loadcnt 0x0
	v_pk_add_f32 v[36:37], v[36:37], v[24:25] neg_lo:[0,1] neg_hi:[0,1]
	v_pk_mul_f32 v[36:37], v[36:37], v[36:37]
	s_delay_alu instid0(VALU_DEP_1) | instskip(NEXT) | instid1(VALU_DEP_1)
	v_fma_f32 v9, v9, v9, v36
	v_add_f32_e32 v9, v9, v37
	s_delay_alu instid0(VALU_DEP_1) | instskip(SKIP_1) | instid1(VALU_DEP_1)
	v_cmp_gt_f32_e32 vcc_lo, 0xf800000, v9
	v_mul_f32_e32 v11, 0x4f800000, v9
	v_cndmask_b32_e32 v9, v9, v11, vcc_lo
	s_delay_alu instid0(VALU_DEP_1) | instskip(SKIP_1) | instid1(TRANS32_DEP_1)
	v_sqrt_f32_e32 v11, v9
	v_nop
	v_add_nc_u32_e32 v27, -1, v11
	s_delay_alu instid0(VALU_DEP_1) | instskip(NEXT) | instid1(VALU_DEP_1)
	v_fma_f32 v36, -v27, v11, v9
	v_cmp_ge_f32_e64 s0, 0, v36
	v_add_nc_u32_e32 v36, 1, v11
	s_delay_alu instid0(VALU_DEP_2) | instskip(NEXT) | instid1(VALU_DEP_2)
	v_cndmask_b32_e64 v27, v11, v27, s0
	v_fma_f32 v11, -v36, v11, v9
	s_delay_alu instid0(VALU_DEP_1) | instskip(NEXT) | instid1(VALU_DEP_1)
	v_cmp_lt_f32_e64 s0, 0, v11
	v_cndmask_b32_e64 v11, v27, v36, s0
	s_delay_alu instid0(VALU_DEP_1) | instskip(NEXT) | instid1(VALU_DEP_1)
	v_mul_f32_e32 v27, 0x37800000, v11
	v_cndmask_b32_e32 v11, v11, v27, vcc_lo
	v_cmp_class_f32_e64 vcc_lo, v9, 0x260
	s_delay_alu instid0(VALU_DEP_2) | instskip(NEXT) | instid1(VALU_DEP_1)
	v_cndmask_b32_e32 v27, v11, v9, vcc_lo
	v_pk_add_f32 v[36:37], v[26:27], v[10:11] op_sel_hi:[1,0] neg_lo:[0,1] neg_hi:[0,1]
	v_pk_fma_f32 v[26:27], v[8:9], v[26:27], 1.0 op_sel_hi:[0,1,0] neg_lo:[1,0,0] neg_hi:[1,0,0]
	v_sub_f32_e32 v9, v69, v115
	s_delay_alu instid0(VALU_DEP_3) | instskip(NEXT) | instid1(VALU_DEP_4)
	v_cmp_gt_f32_e32 vcc_lo, 0, v36
	v_cmp_gt_f32_e64 s0, 0, v37
	v_cmp_gt_f32_e64 s1, s34, v36
	;; [unrolled: 1-line block ×3, first 2 shown]
	v_cndmask_b32_e64 v38, 0, 0x42980000, vcc_lo
	s_delay_alu instid0(VALU_DEP_4) | instskip(NEXT) | instid1(VALU_DEP_4)
	v_cndmask_b32_e64 v39, 0, 0x42980000, s0
	v_cndmask_b32_e64 v40, 0, 1.0, s1
	s_delay_alu instid0(VALU_DEP_4)
	v_cndmask_b32_e64 v41, 0, 1.0, s3
	v_cmp_gt_f32_e64 s1, s31, v37
	v_cmp_gt_f32_e64 s3, s31, v36
	v_pk_fma_f32 v[26:27], v[26:27], v[38:39], v[94:95]
	v_pk_fma_f32 v[38:39], s[18:19], v[36:37], 1.0 op_sel_hi:[0,1,0] neg_lo:[1,0,0] neg_hi:[1,0,0]
	s_and_b32 s1, s30, s1
	s_and_b32 s3, s30, s3
	s_delay_alu instid0(VALU_DEP_1) | instskip(NEXT) | instid1(VALU_DEP_2)
	v_cndmask_b32_e64 v39, v39, 1.0, s0
	v_cndmask_b32_e64 v38, v38, 1.0, vcc_lo
	s_delay_alu instid0(VALU_DEP_1) | instskip(NEXT) | instid1(VALU_DEP_1)
	v_pk_mul_f32 v[38:39], v[40:41], v[38:39]
	v_pk_mul_f32 v[38:39], v[30:31], v[38:39] op_sel_hi:[0,1]
	s_delay_alu instid0(VALU_DEP_1) | instskip(NEXT) | instid1(VALU_DEP_2)
	v_cndmask_b32_e64 v39, v39, -|v39|, s33
	v_cndmask_b32_e64 v38, v38, -|v38|, s33
	s_delay_alu instid0(VALU_DEP_1) | instskip(SKIP_3) | instid1(VALU_DEP_3)
	v_pk_fma_f32 v[26:27], v[38:39], s[12:13], v[26:27] op_sel_hi:[1,0,1]
	v_pk_fma_f32 v[38:39], v[28:29], v[36:37], 1.0 op_sel_hi:[0,1,0] neg_lo:[1,0,0] neg_hi:[1,0,0]
	v_cndmask_b32_e64 v37, 0, 1.0, s1
	v_cndmask_b32_e64 v36, 0, 1.0, s3
	;; [unrolled: 1-line block ×3, first 2 shown]
	s_delay_alu instid0(VALU_DEP_4) | instskip(NEXT) | instid1(VALU_DEP_3)
	v_cndmask_b32_e64 v38, v38, 1.0, vcc_lo
	v_pk_mul_f32 v[36:37], s[16:17], v[36:37] op_sel_hi:[0,1]
	s_delay_alu instid0(VALU_DEP_1)
	v_pk_fma_f32 v[94:95], v[38:39], v[36:37], v[26:27]
	s_clause 0x1
	scratch_load_b64 v[26:27], off, off offset:1676
	scratch_load_b64 v[36:37], off, off offset:1684
	s_wait_loadcnt 0x1
	v_pk_add_f32 v[26:27], v[26:27], v[24:25] neg_lo:[0,1] neg_hi:[0,1]
	s_wait_loadcnt 0x0
	v_pk_add_f32 v[36:37], v[36:37], v[24:25] neg_lo:[0,1] neg_hi:[0,1]
	s_delay_alu instid0(VALU_DEP_2) | instskip(NEXT) | instid1(VALU_DEP_2)
	v_pk_mul_f32 v[26:27], v[26:27], v[26:27]
	v_pk_mul_f32 v[36:37], v[36:37], v[36:37]
	s_delay_alu instid0(VALU_DEP_2) | instskip(NEXT) | instid1(VALU_DEP_1)
	v_fma_f32 v9, v9, v9, v26
	v_add_f32_e32 v9, v9, v27
	s_delay_alu instid0(VALU_DEP_1) | instskip(SKIP_1) | instid1(VALU_DEP_1)
	v_cmp_gt_f32_e32 vcc_lo, 0xf800000, v9
	v_mul_f32_e32 v11, 0x4f800000, v9
	v_cndmask_b32_e32 v9, v9, v11, vcc_lo
	s_delay_alu instid0(VALU_DEP_1) | instskip(SKIP_1) | instid1(TRANS32_DEP_1)
	v_sqrt_f32_e32 v11, v9
	v_nop
	v_add_nc_u32_e32 v26, -1, v11
	s_delay_alu instid0(VALU_DEP_1) | instskip(NEXT) | instid1(VALU_DEP_1)
	v_fma_f32 v27, -v26, v11, v9
	v_cmp_ge_f32_e64 s0, 0, v27
	s_delay_alu instid0(VALU_DEP_1) | instskip(NEXT) | instid1(VALU_DEP_1)
	v_dual_add_nc_u32 v27, 1, v11 :: v_dual_cndmask_b32 v26, v11, v26, s0
	v_fma_f32 v11, -v27, v11, v9
	s_delay_alu instid0(VALU_DEP_1) | instskip(NEXT) | instid1(VALU_DEP_1)
	v_cmp_lt_f32_e64 s0, 0, v11
	v_cndmask_b32_e64 v11, v26, v27, s0
	s_delay_alu instid0(VALU_DEP_1) | instskip(NEXT) | instid1(VALU_DEP_1)
	v_mul_f32_e32 v26, 0x37800000, v11
	v_cndmask_b32_e32 v11, v11, v26, vcc_lo
	v_cmp_class_f32_e64 vcc_lo, v9, 0x260
	s_delay_alu instid0(VALU_DEP_2) | instskip(NEXT) | instid1(VALU_DEP_1)
	v_dual_cndmask_b32 v26, v11, v9 :: v_dual_sub_f32 v9, v48, v115
	v_fma_f32 v9, v9, v9, v36
	s_delay_alu instid0(VALU_DEP_1) | instskip(NEXT) | instid1(VALU_DEP_1)
	v_add_f32_e32 v9, v9, v37
	v_cmp_gt_f32_e32 vcc_lo, 0xf800000, v9
	v_mul_f32_e32 v11, 0x4f800000, v9
	s_delay_alu instid0(VALU_DEP_1) | instskip(NEXT) | instid1(VALU_DEP_1)
	v_cndmask_b32_e32 v9, v9, v11, vcc_lo
	v_sqrt_f32_e32 v11, v9
	v_nop
	s_delay_alu instid0(TRANS32_DEP_1) | instskip(NEXT) | instid1(VALU_DEP_1)
	v_add_nc_u32_e32 v27, -1, v11
	v_fma_f32 v36, -v27, v11, v9
	s_delay_alu instid0(VALU_DEP_1) | instskip(SKIP_1) | instid1(VALU_DEP_2)
	v_cmp_ge_f32_e64 s0, 0, v36
	v_add_nc_u32_e32 v36, 1, v11
	v_cndmask_b32_e64 v27, v11, v27, s0
	s_delay_alu instid0(VALU_DEP_2) | instskip(NEXT) | instid1(VALU_DEP_1)
	v_fma_f32 v11, -v36, v11, v9
	v_cmp_lt_f32_e64 s0, 0, v11
	s_delay_alu instid0(VALU_DEP_1) | instskip(NEXT) | instid1(VALU_DEP_1)
	v_cndmask_b32_e64 v11, v27, v36, s0
	v_mul_f32_e32 v27, 0x37800000, v11
	s_delay_alu instid0(VALU_DEP_1) | instskip(SKIP_1) | instid1(VALU_DEP_2)
	v_cndmask_b32_e32 v11, v11, v27, vcc_lo
	v_cmp_class_f32_e64 vcc_lo, v9, 0x260
	v_cndmask_b32_e32 v27, v11, v9, vcc_lo
	s_delay_alu instid0(VALU_DEP_1) | instskip(SKIP_2) | instid1(VALU_DEP_3)
	v_pk_add_f32 v[36:37], v[26:27], v[10:11] op_sel_hi:[1,0] neg_lo:[0,1] neg_hi:[0,1]
	v_pk_fma_f32 v[26:27], v[8:9], v[26:27], 1.0 op_sel_hi:[0,1,0] neg_lo:[1,0,0] neg_hi:[1,0,0]
	v_sub_f32_e32 v9, v46, v115
	v_cmp_gt_f32_e32 vcc_lo, 0, v36
	s_delay_alu instid0(VALU_DEP_4) | instskip(SKIP_3) | instid1(VALU_DEP_4)
	v_cmp_gt_f32_e64 s0, 0, v37
	v_cmp_gt_f32_e64 s1, s34, v36
	v_cmp_gt_f32_e64 s3, s34, v37
	v_cndmask_b32_e64 v38, 0, 0x42980000, vcc_lo
	v_cndmask_b32_e64 v39, 0, 0x42980000, s0
	s_delay_alu instid0(VALU_DEP_4) | instskip(NEXT) | instid1(VALU_DEP_4)
	v_cndmask_b32_e64 v40, 0, 1.0, s1
	v_cndmask_b32_e64 v41, 0, 1.0, s3
	v_cmp_gt_f32_e64 s1, s31, v37
	v_cmp_gt_f32_e64 s3, s31, v36
	v_pk_fma_f32 v[26:27], v[26:27], v[38:39], v[86:87]
	v_pk_fma_f32 v[38:39], s[18:19], v[36:37], 1.0 op_sel_hi:[0,1,0] neg_lo:[1,0,0] neg_hi:[1,0,0]
	s_and_b32 s1, s30, s1
	s_and_b32 s3, s30, s3
	s_delay_alu instid0(VALU_DEP_1) | instskip(NEXT) | instid1(VALU_DEP_2)
	v_cndmask_b32_e64 v39, v39, 1.0, s0
	v_cndmask_b32_e64 v38, v38, 1.0, vcc_lo
	s_delay_alu instid0(VALU_DEP_1) | instskip(NEXT) | instid1(VALU_DEP_1)
	v_pk_mul_f32 v[38:39], v[40:41], v[38:39]
	v_pk_mul_f32 v[38:39], v[30:31], v[38:39] op_sel_hi:[0,1]
	s_delay_alu instid0(VALU_DEP_1) | instskip(NEXT) | instid1(VALU_DEP_2)
	v_cndmask_b32_e64 v39, v39, -|v39|, s33
	v_cndmask_b32_e64 v38, v38, -|v38|, s33
	s_delay_alu instid0(VALU_DEP_1) | instskip(SKIP_3) | instid1(VALU_DEP_3)
	v_pk_fma_f32 v[26:27], v[38:39], s[12:13], v[26:27] op_sel_hi:[1,0,1]
	v_pk_fma_f32 v[38:39], v[28:29], v[36:37], 1.0 op_sel_hi:[0,1,0] neg_lo:[1,0,0] neg_hi:[1,0,0]
	v_cndmask_b32_e64 v37, 0, 1.0, s1
	v_cndmask_b32_e64 v36, 0, 1.0, s3
	;; [unrolled: 1-line block ×3, first 2 shown]
	s_delay_alu instid0(VALU_DEP_4) | instskip(NEXT) | instid1(VALU_DEP_3)
	v_cndmask_b32_e64 v38, v38, 1.0, vcc_lo
	v_pk_mul_f32 v[36:37], s[16:17], v[36:37] op_sel_hi:[0,1]
	s_delay_alu instid0(VALU_DEP_1)
	v_pk_fma_f32 v[86:87], v[38:39], v[36:37], v[26:27]
	s_clause 0x1
	scratch_load_b64 v[26:27], off, off offset:1692
	scratch_load_b64 v[36:37], off, off offset:1700
	s_wait_loadcnt 0x1
	v_pk_add_f32 v[26:27], v[26:27], v[24:25] neg_lo:[0,1] neg_hi:[0,1]
	s_wait_loadcnt 0x0
	v_pk_add_f32 v[36:37], v[36:37], v[24:25] neg_lo:[0,1] neg_hi:[0,1]
	s_delay_alu instid0(VALU_DEP_2) | instskip(NEXT) | instid1(VALU_DEP_2)
	v_pk_mul_f32 v[26:27], v[26:27], v[26:27]
	v_pk_mul_f32 v[36:37], v[36:37], v[36:37]
	s_delay_alu instid0(VALU_DEP_2) | instskip(NEXT) | instid1(VALU_DEP_1)
	v_fma_f32 v9, v9, v9, v26
	v_add_f32_e32 v9, v9, v27
	s_delay_alu instid0(VALU_DEP_1) | instskip(SKIP_1) | instid1(VALU_DEP_1)
	v_cmp_gt_f32_e32 vcc_lo, 0xf800000, v9
	v_mul_f32_e32 v11, 0x4f800000, v9
	v_cndmask_b32_e32 v9, v9, v11, vcc_lo
	s_delay_alu instid0(VALU_DEP_1) | instskip(SKIP_1) | instid1(TRANS32_DEP_1)
	v_sqrt_f32_e32 v11, v9
	v_nop
	v_add_nc_u32_e32 v26, -1, v11
	s_delay_alu instid0(VALU_DEP_1) | instskip(NEXT) | instid1(VALU_DEP_1)
	v_fma_f32 v27, -v26, v11, v9
	v_cmp_ge_f32_e64 s0, 0, v27
	s_delay_alu instid0(VALU_DEP_1) | instskip(NEXT) | instid1(VALU_DEP_1)
	v_dual_add_nc_u32 v27, 1, v11 :: v_dual_cndmask_b32 v26, v11, v26, s0
	v_fma_f32 v11, -v27, v11, v9
	s_delay_alu instid0(VALU_DEP_1) | instskip(NEXT) | instid1(VALU_DEP_1)
	v_cmp_lt_f32_e64 s0, 0, v11
	v_cndmask_b32_e64 v11, v26, v27, s0
	s_delay_alu instid0(VALU_DEP_1) | instskip(NEXT) | instid1(VALU_DEP_1)
	v_mul_f32_e32 v26, 0x37800000, v11
	v_cndmask_b32_e32 v11, v11, v26, vcc_lo
	v_cmp_class_f32_e64 vcc_lo, v9, 0x260
	s_delay_alu instid0(VALU_DEP_2) | instskip(NEXT) | instid1(VALU_DEP_1)
	v_dual_cndmask_b32 v26, v11, v9 :: v_dual_sub_f32 v9, v49, v115
	v_fma_f32 v9, v9, v9, v36
	s_delay_alu instid0(VALU_DEP_1) | instskip(NEXT) | instid1(VALU_DEP_1)
	v_add_f32_e32 v9, v9, v37
	v_cmp_gt_f32_e32 vcc_lo, 0xf800000, v9
	v_mul_f32_e32 v11, 0x4f800000, v9
	s_delay_alu instid0(VALU_DEP_1) | instskip(NEXT) | instid1(VALU_DEP_1)
	v_cndmask_b32_e32 v9, v9, v11, vcc_lo
	v_sqrt_f32_e32 v11, v9
	v_nop
	s_delay_alu instid0(TRANS32_DEP_1) | instskip(NEXT) | instid1(VALU_DEP_1)
	v_add_nc_u32_e32 v27, -1, v11
	v_fma_f32 v36, -v27, v11, v9
	s_delay_alu instid0(VALU_DEP_1) | instskip(SKIP_1) | instid1(VALU_DEP_2)
	v_cmp_ge_f32_e64 s0, 0, v36
	v_add_nc_u32_e32 v36, 1, v11
	v_cndmask_b32_e64 v27, v11, v27, s0
	s_delay_alu instid0(VALU_DEP_2) | instskip(NEXT) | instid1(VALU_DEP_1)
	v_fma_f32 v11, -v36, v11, v9
	v_cmp_lt_f32_e64 s0, 0, v11
	s_delay_alu instid0(VALU_DEP_1) | instskip(NEXT) | instid1(VALU_DEP_1)
	v_cndmask_b32_e64 v11, v27, v36, s0
	v_mul_f32_e32 v27, 0x37800000, v11
	s_delay_alu instid0(VALU_DEP_1) | instskip(SKIP_1) | instid1(VALU_DEP_2)
	v_cndmask_b32_e32 v11, v11, v27, vcc_lo
	v_cmp_class_f32_e64 vcc_lo, v9, 0x260
	v_cndmask_b32_e32 v27, v11, v9, vcc_lo
	s_delay_alu instid0(VALU_DEP_1) | instskip(SKIP_2) | instid1(VALU_DEP_3)
	v_pk_add_f32 v[36:37], v[26:27], v[10:11] op_sel_hi:[1,0] neg_lo:[0,1] neg_hi:[0,1]
	v_pk_fma_f32 v[26:27], v[8:9], v[26:27], 1.0 op_sel_hi:[0,1,0] neg_lo:[1,0,0] neg_hi:[1,0,0]
	v_sub_f32_e32 v9, v50, v115
	v_cmp_gt_f32_e32 vcc_lo, 0, v36
	s_delay_alu instid0(VALU_DEP_4) | instskip(SKIP_3) | instid1(VALU_DEP_4)
	v_cmp_gt_f32_e64 s0, 0, v37
	v_cmp_gt_f32_e64 s1, s34, v36
	;; [unrolled: 1-line block ×3, first 2 shown]
	v_cndmask_b32_e64 v38, 0, 0x42980000, vcc_lo
	v_cndmask_b32_e64 v39, 0, 0x42980000, s0
	s_delay_alu instid0(VALU_DEP_4) | instskip(NEXT) | instid1(VALU_DEP_4)
	v_cndmask_b32_e64 v40, 0, 1.0, s1
	v_cndmask_b32_e64 v41, 0, 1.0, s3
	v_cmp_gt_f32_e64 s1, s31, v37
	v_cmp_gt_f32_e64 s3, s31, v36
	v_pk_fma_f32 v[26:27], v[26:27], v[38:39], v[88:89]
	v_pk_fma_f32 v[38:39], s[18:19], v[36:37], 1.0 op_sel_hi:[0,1,0] neg_lo:[1,0,0] neg_hi:[1,0,0]
	s_and_b32 s1, s30, s1
	s_and_b32 s3, s30, s3
	s_delay_alu instid0(VALU_DEP_1) | instskip(NEXT) | instid1(VALU_DEP_2)
	v_cndmask_b32_e64 v39, v39, 1.0, s0
	v_cndmask_b32_e64 v38, v38, 1.0, vcc_lo
	s_delay_alu instid0(VALU_DEP_1) | instskip(NEXT) | instid1(VALU_DEP_1)
	v_pk_mul_f32 v[38:39], v[40:41], v[38:39]
	v_pk_mul_f32 v[38:39], v[30:31], v[38:39] op_sel_hi:[0,1]
	s_delay_alu instid0(VALU_DEP_1) | instskip(NEXT) | instid1(VALU_DEP_2)
	v_cndmask_b32_e64 v39, v39, -|v39|, s33
	v_cndmask_b32_e64 v38, v38, -|v38|, s33
	s_delay_alu instid0(VALU_DEP_1) | instskip(SKIP_3) | instid1(VALU_DEP_3)
	v_pk_fma_f32 v[26:27], v[38:39], s[12:13], v[26:27] op_sel_hi:[1,0,1]
	v_pk_fma_f32 v[38:39], v[28:29], v[36:37], 1.0 op_sel_hi:[0,1,0] neg_lo:[1,0,0] neg_hi:[1,0,0]
	v_cndmask_b32_e64 v37, 0, 1.0, s1
	v_cndmask_b32_e64 v36, 0, 1.0, s3
	;; [unrolled: 1-line block ×3, first 2 shown]
	s_delay_alu instid0(VALU_DEP_4) | instskip(NEXT) | instid1(VALU_DEP_3)
	v_cndmask_b32_e64 v38, v38, 1.0, vcc_lo
	v_pk_mul_f32 v[36:37], s[16:17], v[36:37] op_sel_hi:[0,1]
	s_delay_alu instid0(VALU_DEP_1)
	v_pk_fma_f32 v[88:89], v[38:39], v[36:37], v[26:27]
	s_clause 0x1
	scratch_load_b64 v[26:27], off, off offset:1708
	scratch_load_b64 v[36:37], off, off offset:1716
	s_wait_loadcnt 0x1
	v_pk_add_f32 v[26:27], v[26:27], v[24:25] neg_lo:[0,1] neg_hi:[0,1]
	s_wait_loadcnt 0x0
	v_pk_add_f32 v[36:37], v[36:37], v[24:25] neg_lo:[0,1] neg_hi:[0,1]
	s_delay_alu instid0(VALU_DEP_2) | instskip(NEXT) | instid1(VALU_DEP_2)
	v_pk_mul_f32 v[26:27], v[26:27], v[26:27]
	v_pk_mul_f32 v[36:37], v[36:37], v[36:37]
	s_delay_alu instid0(VALU_DEP_2) | instskip(NEXT) | instid1(VALU_DEP_1)
	v_fma_f32 v9, v9, v9, v26
	v_add_f32_e32 v9, v9, v27
	s_delay_alu instid0(VALU_DEP_1) | instskip(SKIP_1) | instid1(VALU_DEP_1)
	v_cmp_gt_f32_e32 vcc_lo, 0xf800000, v9
	v_mul_f32_e32 v11, 0x4f800000, v9
	v_cndmask_b32_e32 v9, v9, v11, vcc_lo
	s_delay_alu instid0(VALU_DEP_1) | instskip(SKIP_1) | instid1(TRANS32_DEP_1)
	v_sqrt_f32_e32 v11, v9
	v_nop
	v_add_nc_u32_e32 v26, -1, v11
	s_delay_alu instid0(VALU_DEP_1) | instskip(NEXT) | instid1(VALU_DEP_1)
	v_fma_f32 v27, -v26, v11, v9
	v_cmp_ge_f32_e64 s0, 0, v27
	s_delay_alu instid0(VALU_DEP_1) | instskip(NEXT) | instid1(VALU_DEP_1)
	v_dual_add_nc_u32 v27, 1, v11 :: v_dual_cndmask_b32 v26, v11, v26, s0
	v_fma_f32 v11, -v27, v11, v9
	s_delay_alu instid0(VALU_DEP_1) | instskip(NEXT) | instid1(VALU_DEP_1)
	v_cmp_lt_f32_e64 s0, 0, v11
	v_cndmask_b32_e64 v11, v26, v27, s0
	s_delay_alu instid0(VALU_DEP_1) | instskip(NEXT) | instid1(VALU_DEP_1)
	v_mul_f32_e32 v26, 0x37800000, v11
	v_cndmask_b32_e32 v11, v11, v26, vcc_lo
	v_cmp_class_f32_e64 vcc_lo, v9, 0x260
	s_delay_alu instid0(VALU_DEP_2) | instskip(NEXT) | instid1(VALU_DEP_1)
	v_dual_cndmask_b32 v26, v11, v9 :: v_dual_sub_f32 v9, v121, v115
	v_fma_f32 v9, v9, v9, v36
	s_delay_alu instid0(VALU_DEP_1) | instskip(NEXT) | instid1(VALU_DEP_1)
	v_add_f32_e32 v9, v9, v37
	v_cmp_gt_f32_e32 vcc_lo, 0xf800000, v9
	v_mul_f32_e32 v11, 0x4f800000, v9
	s_delay_alu instid0(VALU_DEP_1) | instskip(NEXT) | instid1(VALU_DEP_1)
	v_cndmask_b32_e32 v9, v9, v11, vcc_lo
	v_sqrt_f32_e32 v11, v9
	v_nop
	s_delay_alu instid0(TRANS32_DEP_1) | instskip(NEXT) | instid1(VALU_DEP_1)
	v_add_nc_u32_e32 v27, -1, v11
	v_fma_f32 v36, -v27, v11, v9
	s_delay_alu instid0(VALU_DEP_1) | instskip(SKIP_1) | instid1(VALU_DEP_2)
	v_cmp_ge_f32_e64 s0, 0, v36
	v_add_nc_u32_e32 v36, 1, v11
	v_cndmask_b32_e64 v27, v11, v27, s0
	s_delay_alu instid0(VALU_DEP_2) | instskip(NEXT) | instid1(VALU_DEP_1)
	v_fma_f32 v11, -v36, v11, v9
	v_cmp_lt_f32_e64 s0, 0, v11
	s_delay_alu instid0(VALU_DEP_1) | instskip(NEXT) | instid1(VALU_DEP_1)
	v_cndmask_b32_e64 v11, v27, v36, s0
	v_mul_f32_e32 v27, 0x37800000, v11
	s_delay_alu instid0(VALU_DEP_1) | instskip(SKIP_1) | instid1(VALU_DEP_2)
	v_cndmask_b32_e32 v11, v11, v27, vcc_lo
	v_cmp_class_f32_e64 vcc_lo, v9, 0x260
	v_cndmask_b32_e32 v27, v11, v9, vcc_lo
	s_delay_alu instid0(VALU_DEP_1) | instskip(SKIP_2) | instid1(VALU_DEP_3)
	v_pk_add_f32 v[36:37], v[26:27], v[10:11] op_sel_hi:[1,0] neg_lo:[0,1] neg_hi:[0,1]
	v_pk_fma_f32 v[26:27], v[8:9], v[26:27], 1.0 op_sel_hi:[0,1,0] neg_lo:[1,0,0] neg_hi:[1,0,0]
	v_sub_f32_e32 v9, v42, v115
	v_cmp_gt_f32_e32 vcc_lo, 0, v36
	s_delay_alu instid0(VALU_DEP_4) | instskip(SKIP_3) | instid1(VALU_DEP_4)
	v_cmp_gt_f32_e64 s0, 0, v37
	v_cmp_gt_f32_e64 s1, s34, v36
	;; [unrolled: 1-line block ×3, first 2 shown]
	v_cndmask_b32_e64 v38, 0, 0x42980000, vcc_lo
	v_cndmask_b32_e64 v39, 0, 0x42980000, s0
	s_delay_alu instid0(VALU_DEP_4) | instskip(NEXT) | instid1(VALU_DEP_4)
	v_cndmask_b32_e64 v40, 0, 1.0, s1
	v_cndmask_b32_e64 v41, 0, 1.0, s3
	v_cmp_gt_f32_e64 s1, s31, v37
	v_cmp_gt_f32_e64 s3, s31, v36
	v_pk_fma_f32 v[26:27], v[26:27], v[38:39], v[70:71]
	v_pk_fma_f32 v[38:39], s[18:19], v[36:37], 1.0 op_sel_hi:[0,1,0] neg_lo:[1,0,0] neg_hi:[1,0,0]
	s_and_b32 s1, s30, s1
	s_and_b32 s3, s30, s3
	s_delay_alu instid0(VALU_DEP_1) | instskip(NEXT) | instid1(VALU_DEP_2)
	v_cndmask_b32_e64 v39, v39, 1.0, s0
	v_cndmask_b32_e64 v38, v38, 1.0, vcc_lo
	s_delay_alu instid0(VALU_DEP_1) | instskip(NEXT) | instid1(VALU_DEP_1)
	v_pk_mul_f32 v[38:39], v[40:41], v[38:39]
	v_pk_mul_f32 v[38:39], v[30:31], v[38:39] op_sel_hi:[0,1]
	s_delay_alu instid0(VALU_DEP_1) | instskip(NEXT) | instid1(VALU_DEP_2)
	v_cndmask_b32_e64 v39, v39, -|v39|, s33
	v_cndmask_b32_e64 v38, v38, -|v38|, s33
	s_delay_alu instid0(VALU_DEP_1) | instskip(SKIP_3) | instid1(VALU_DEP_3)
	v_pk_fma_f32 v[26:27], v[38:39], s[12:13], v[26:27] op_sel_hi:[1,0,1]
	v_pk_fma_f32 v[38:39], v[28:29], v[36:37], 1.0 op_sel_hi:[0,1,0] neg_lo:[1,0,0] neg_hi:[1,0,0]
	v_cndmask_b32_e64 v37, 0, 1.0, s1
	v_cndmask_b32_e64 v36, 0, 1.0, s3
	;; [unrolled: 1-line block ×3, first 2 shown]
	s_delay_alu instid0(VALU_DEP_4) | instskip(NEXT) | instid1(VALU_DEP_3)
	v_cndmask_b32_e64 v38, v38, 1.0, vcc_lo
	v_pk_mul_f32 v[36:37], s[16:17], v[36:37] op_sel_hi:[0,1]
	s_delay_alu instid0(VALU_DEP_1)
	v_pk_fma_f32 v[70:71], v[38:39], v[36:37], v[26:27]
	s_clause 0x1
	scratch_load_b64 v[26:27], off, off offset:1724
	scratch_load_b64 v[36:37], off, off offset:1732
	s_wait_loadcnt 0x1
	v_pk_add_f32 v[26:27], v[26:27], v[24:25] neg_lo:[0,1] neg_hi:[0,1]
	s_wait_loadcnt 0x0
	v_pk_add_f32 v[36:37], v[36:37], v[24:25] neg_lo:[0,1] neg_hi:[0,1]
	s_delay_alu instid0(VALU_DEP_2) | instskip(NEXT) | instid1(VALU_DEP_2)
	v_pk_mul_f32 v[26:27], v[26:27], v[26:27]
	v_pk_mul_f32 v[36:37], v[36:37], v[36:37]
	s_delay_alu instid0(VALU_DEP_2) | instskip(NEXT) | instid1(VALU_DEP_1)
	v_fma_f32 v9, v9, v9, v26
	v_add_f32_e32 v9, v9, v27
	s_delay_alu instid0(VALU_DEP_1) | instskip(SKIP_1) | instid1(VALU_DEP_1)
	v_cmp_gt_f32_e32 vcc_lo, 0xf800000, v9
	v_mul_f32_e32 v11, 0x4f800000, v9
	v_cndmask_b32_e32 v9, v9, v11, vcc_lo
	s_delay_alu instid0(VALU_DEP_1) | instskip(SKIP_1) | instid1(TRANS32_DEP_1)
	v_sqrt_f32_e32 v11, v9
	v_nop
	v_add_nc_u32_e32 v26, -1, v11
	s_delay_alu instid0(VALU_DEP_1) | instskip(NEXT) | instid1(VALU_DEP_1)
	v_fma_f32 v27, -v26, v11, v9
	v_cmp_ge_f32_e64 s0, 0, v27
	s_delay_alu instid0(VALU_DEP_1) | instskip(NEXT) | instid1(VALU_DEP_1)
	v_dual_add_nc_u32 v27, 1, v11 :: v_dual_cndmask_b32 v26, v11, v26, s0
	v_fma_f32 v11, -v27, v11, v9
	s_delay_alu instid0(VALU_DEP_1) | instskip(NEXT) | instid1(VALU_DEP_1)
	v_cmp_lt_f32_e64 s0, 0, v11
	v_cndmask_b32_e64 v11, v26, v27, s0
	s_delay_alu instid0(VALU_DEP_1) | instskip(NEXT) | instid1(VALU_DEP_1)
	v_mul_f32_e32 v26, 0x37800000, v11
	v_cndmask_b32_e32 v11, v11, v26, vcc_lo
	v_cmp_class_f32_e64 vcc_lo, v9, 0x260
	s_delay_alu instid0(VALU_DEP_2) | instskip(SKIP_1) | instid1(VALU_DEP_1)
	v_cndmask_b32_e32 v26, v11, v9, vcc_lo
	v_sub_f32_e32 v9, v127, v115
	v_fma_f32 v9, v9, v9, v36
	s_delay_alu instid0(VALU_DEP_1) | instskip(NEXT) | instid1(VALU_DEP_1)
	v_add_f32_e32 v9, v9, v37
	v_cmp_gt_f32_e32 vcc_lo, 0xf800000, v9
	v_mul_f32_e32 v11, 0x4f800000, v9
	s_delay_alu instid0(VALU_DEP_1) | instskip(NEXT) | instid1(VALU_DEP_1)
	v_cndmask_b32_e32 v9, v9, v11, vcc_lo
	v_sqrt_f32_e32 v11, v9
	v_nop
	s_delay_alu instid0(TRANS32_DEP_1) | instskip(NEXT) | instid1(VALU_DEP_1)
	v_add_nc_u32_e32 v27, -1, v11
	v_fma_f32 v36, -v27, v11, v9
	s_delay_alu instid0(VALU_DEP_1) | instskip(SKIP_1) | instid1(VALU_DEP_2)
	v_cmp_ge_f32_e64 s0, 0, v36
	v_add_nc_u32_e32 v36, 1, v11
	v_cndmask_b32_e64 v27, v11, v27, s0
	s_delay_alu instid0(VALU_DEP_2) | instskip(NEXT) | instid1(VALU_DEP_1)
	v_fma_f32 v11, -v36, v11, v9
	v_cmp_lt_f32_e64 s0, 0, v11
	s_delay_alu instid0(VALU_DEP_1) | instskip(NEXT) | instid1(VALU_DEP_1)
	v_cndmask_b32_e64 v11, v27, v36, s0
	v_mul_f32_e32 v27, 0x37800000, v11
	s_delay_alu instid0(VALU_DEP_1) | instskip(SKIP_1) | instid1(VALU_DEP_2)
	v_cndmask_b32_e32 v11, v11, v27, vcc_lo
	v_cmp_class_f32_e64 vcc_lo, v9, 0x260
	v_cndmask_b32_e32 v27, v11, v9, vcc_lo
	s_delay_alu instid0(VALU_DEP_1) | instskip(SKIP_2) | instid1(VALU_DEP_3)
	v_pk_add_f32 v[36:37], v[26:27], v[10:11] op_sel_hi:[1,0] neg_lo:[0,1] neg_hi:[0,1]
	v_pk_fma_f32 v[26:27], v[8:9], v[26:27], 1.0 op_sel_hi:[0,1,0] neg_lo:[1,0,0] neg_hi:[1,0,0]
	v_sub_f32_e32 v9, v126, v115
	v_cmp_gt_f32_e32 vcc_lo, 0, v36
	s_delay_alu instid0(VALU_DEP_4) | instskip(SKIP_3) | instid1(VALU_DEP_4)
	v_cmp_gt_f32_e64 s0, 0, v37
	v_cmp_gt_f32_e64 s1, s34, v36
	;; [unrolled: 1-line block ×3, first 2 shown]
	v_cndmask_b32_e64 v38, 0, 0x42980000, vcc_lo
	v_cndmask_b32_e64 v39, 0, 0x42980000, s0
	s_delay_alu instid0(VALU_DEP_4) | instskip(NEXT) | instid1(VALU_DEP_4)
	v_cndmask_b32_e64 v40, 0, 1.0, s1
	v_cndmask_b32_e64 v41, 0, 1.0, s3
	v_cmp_gt_f32_e64 s1, s31, v37
	v_cmp_gt_f32_e64 s3, s31, v36
	v_pk_fma_f32 v[26:27], v[26:27], v[38:39], v[72:73]
	v_pk_fma_f32 v[38:39], s[18:19], v[36:37], 1.0 op_sel_hi:[0,1,0] neg_lo:[1,0,0] neg_hi:[1,0,0]
	s_and_b32 s1, s30, s1
	s_and_b32 s3, s30, s3
	s_delay_alu instid0(VALU_DEP_1) | instskip(NEXT) | instid1(VALU_DEP_2)
	v_cndmask_b32_e64 v39, v39, 1.0, s0
	v_cndmask_b32_e64 v38, v38, 1.0, vcc_lo
	s_delay_alu instid0(VALU_DEP_1) | instskip(NEXT) | instid1(VALU_DEP_1)
	v_pk_mul_f32 v[38:39], v[40:41], v[38:39]
	v_pk_mul_f32 v[38:39], v[30:31], v[38:39] op_sel_hi:[0,1]
	s_delay_alu instid0(VALU_DEP_1) | instskip(NEXT) | instid1(VALU_DEP_2)
	v_cndmask_b32_e64 v39, v39, -|v39|, s33
	v_cndmask_b32_e64 v38, v38, -|v38|, s33
	s_delay_alu instid0(VALU_DEP_1) | instskip(SKIP_3) | instid1(VALU_DEP_3)
	v_pk_fma_f32 v[26:27], v[38:39], s[12:13], v[26:27] op_sel_hi:[1,0,1]
	v_pk_fma_f32 v[38:39], v[28:29], v[36:37], 1.0 op_sel_hi:[0,1,0] neg_lo:[1,0,0] neg_hi:[1,0,0]
	v_cndmask_b32_e64 v37, 0, 1.0, s1
	v_cndmask_b32_e64 v36, 0, 1.0, s3
	;; [unrolled: 1-line block ×3, first 2 shown]
	s_delay_alu instid0(VALU_DEP_4) | instskip(NEXT) | instid1(VALU_DEP_3)
	v_cndmask_b32_e64 v38, v38, 1.0, vcc_lo
	v_pk_mul_f32 v[36:37], s[16:17], v[36:37] op_sel_hi:[0,1]
	s_delay_alu instid0(VALU_DEP_1)
	v_pk_fma_f32 v[72:73], v[38:39], v[36:37], v[26:27]
	s_clause 0x1
	scratch_load_b64 v[26:27], off, off offset:1740
	scratch_load_b64 v[36:37], off, off offset:1748
	s_wait_loadcnt 0x1
	v_pk_add_f32 v[26:27], v[26:27], v[24:25] neg_lo:[0,1] neg_hi:[0,1]
	s_wait_loadcnt 0x0
	v_pk_add_f32 v[36:37], v[36:37], v[24:25] neg_lo:[0,1] neg_hi:[0,1]
	s_delay_alu instid0(VALU_DEP_2) | instskip(NEXT) | instid1(VALU_DEP_2)
	v_pk_mul_f32 v[26:27], v[26:27], v[26:27]
	v_pk_mul_f32 v[36:37], v[36:37], v[36:37]
	s_delay_alu instid0(VALU_DEP_2) | instskip(NEXT) | instid1(VALU_DEP_1)
	v_fma_f32 v9, v9, v9, v26
	v_add_f32_e32 v9, v9, v27
	s_delay_alu instid0(VALU_DEP_1) | instskip(SKIP_1) | instid1(VALU_DEP_1)
	v_cmp_gt_f32_e32 vcc_lo, 0xf800000, v9
	v_mul_f32_e32 v11, 0x4f800000, v9
	v_cndmask_b32_e32 v9, v9, v11, vcc_lo
	s_delay_alu instid0(VALU_DEP_1) | instskip(SKIP_1) | instid1(TRANS32_DEP_1)
	v_sqrt_f32_e32 v11, v9
	v_nop
	v_add_nc_u32_e32 v26, -1, v11
	s_delay_alu instid0(VALU_DEP_1) | instskip(NEXT) | instid1(VALU_DEP_1)
	v_fma_f32 v27, -v26, v11, v9
	v_cmp_ge_f32_e64 s0, 0, v27
	s_delay_alu instid0(VALU_DEP_1) | instskip(NEXT) | instid1(VALU_DEP_1)
	v_dual_add_nc_u32 v27, 1, v11 :: v_dual_cndmask_b32 v26, v11, v26, s0
	v_fma_f32 v11, -v27, v11, v9
	s_delay_alu instid0(VALU_DEP_1) | instskip(NEXT) | instid1(VALU_DEP_1)
	v_cmp_lt_f32_e64 s0, 0, v11
	v_cndmask_b32_e64 v11, v26, v27, s0
	s_delay_alu instid0(VALU_DEP_1) | instskip(NEXT) | instid1(VALU_DEP_1)
	v_mul_f32_e32 v26, 0x37800000, v11
	v_cndmask_b32_e32 v11, v11, v26, vcc_lo
	v_cmp_class_f32_e64 vcc_lo, v9, 0x260
	s_delay_alu instid0(VALU_DEP_2) | instskip(NEXT) | instid1(VALU_DEP_1)
	v_dual_cndmask_b32 v26, v11, v9 :: v_dual_sub_f32 v9, v12, v115
	v_fma_f32 v9, v9, v9, v36
	s_delay_alu instid0(VALU_DEP_1) | instskip(NEXT) | instid1(VALU_DEP_1)
	v_add_f32_e32 v9, v9, v37
	v_cmp_gt_f32_e32 vcc_lo, 0xf800000, v9
	v_mul_f32_e32 v11, 0x4f800000, v9
	s_delay_alu instid0(VALU_DEP_1) | instskip(NEXT) | instid1(VALU_DEP_1)
	v_cndmask_b32_e32 v9, v9, v11, vcc_lo
	v_sqrt_f32_e32 v11, v9
	v_nop
	s_delay_alu instid0(TRANS32_DEP_1) | instskip(NEXT) | instid1(VALU_DEP_1)
	v_add_nc_u32_e32 v27, -1, v11
	v_fma_f32 v36, -v27, v11, v9
	s_delay_alu instid0(VALU_DEP_1) | instskip(SKIP_1) | instid1(VALU_DEP_2)
	v_cmp_ge_f32_e64 s0, 0, v36
	v_add_nc_u32_e32 v36, 1, v11
	v_cndmask_b32_e64 v27, v11, v27, s0
	s_delay_alu instid0(VALU_DEP_2) | instskip(NEXT) | instid1(VALU_DEP_1)
	v_fma_f32 v11, -v36, v11, v9
	v_cmp_lt_f32_e64 s0, 0, v11
	s_delay_alu instid0(VALU_DEP_1) | instskip(NEXT) | instid1(VALU_DEP_1)
	v_cndmask_b32_e64 v11, v27, v36, s0
	v_mul_f32_e32 v27, 0x37800000, v11
	s_delay_alu instid0(VALU_DEP_1) | instskip(SKIP_1) | instid1(VALU_DEP_2)
	v_cndmask_b32_e32 v11, v11, v27, vcc_lo
	v_cmp_class_f32_e64 vcc_lo, v9, 0x260
	v_cndmask_b32_e32 v27, v11, v9, vcc_lo
	s_delay_alu instid0(VALU_DEP_1) | instskip(SKIP_2) | instid1(VALU_DEP_3)
	v_pk_add_f32 v[36:37], v[26:27], v[10:11] op_sel_hi:[1,0] neg_lo:[0,1] neg_hi:[0,1]
	v_pk_fma_f32 v[26:27], v[8:9], v[26:27], 1.0 op_sel_hi:[0,1,0] neg_lo:[1,0,0] neg_hi:[1,0,0]
	v_sub_f32_e32 v9, v80, v115
	v_cmp_gt_f32_e32 vcc_lo, 0, v36
	s_delay_alu instid0(VALU_DEP_4) | instskip(SKIP_3) | instid1(VALU_DEP_4)
	v_cmp_gt_f32_e64 s0, 0, v37
	v_cmp_gt_f32_e64 s1, s34, v36
	;; [unrolled: 1-line block ×3, first 2 shown]
	v_cndmask_b32_e64 v38, 0, 0x42980000, vcc_lo
	v_cndmask_b32_e64 v39, 0, 0x42980000, s0
	s_delay_alu instid0(VALU_DEP_4) | instskip(NEXT) | instid1(VALU_DEP_4)
	v_cndmask_b32_e64 v40, 0, 1.0, s1
	v_cndmask_b32_e64 v41, 0, 1.0, s3
	v_cmp_gt_f32_e64 s1, s31, v37
	v_cmp_gt_f32_e64 s3, s31, v36
	v_pk_fma_f32 v[26:27], v[26:27], v[38:39], v[62:63]
	v_pk_fma_f32 v[38:39], s[18:19], v[36:37], 1.0 op_sel_hi:[0,1,0] neg_lo:[1,0,0] neg_hi:[1,0,0]
	s_and_b32 s1, s30, s1
	s_and_b32 s3, s30, s3
	s_delay_alu instid0(VALU_DEP_1) | instskip(NEXT) | instid1(VALU_DEP_2)
	v_cndmask_b32_e64 v39, v39, 1.0, s0
	v_cndmask_b32_e64 v38, v38, 1.0, vcc_lo
	s_delay_alu instid0(VALU_DEP_1) | instskip(NEXT) | instid1(VALU_DEP_1)
	v_pk_mul_f32 v[38:39], v[40:41], v[38:39]
	v_pk_mul_f32 v[38:39], v[30:31], v[38:39] op_sel_hi:[0,1]
	s_delay_alu instid0(VALU_DEP_1) | instskip(NEXT) | instid1(VALU_DEP_2)
	v_cndmask_b32_e64 v39, v39, -|v39|, s33
	v_cndmask_b32_e64 v38, v38, -|v38|, s33
	s_delay_alu instid0(VALU_DEP_1) | instskip(SKIP_3) | instid1(VALU_DEP_3)
	v_pk_fma_f32 v[26:27], v[38:39], s[12:13], v[26:27] op_sel_hi:[1,0,1]
	v_pk_fma_f32 v[38:39], v[28:29], v[36:37], 1.0 op_sel_hi:[0,1,0] neg_lo:[1,0,0] neg_hi:[1,0,0]
	v_cndmask_b32_e64 v37, 0, 1.0, s1
	v_cndmask_b32_e64 v36, 0, 1.0, s3
	;; [unrolled: 1-line block ×3, first 2 shown]
	s_delay_alu instid0(VALU_DEP_4) | instskip(NEXT) | instid1(VALU_DEP_3)
	v_cndmask_b32_e64 v38, v38, 1.0, vcc_lo
	v_pk_mul_f32 v[36:37], s[16:17], v[36:37] op_sel_hi:[0,1]
	s_delay_alu instid0(VALU_DEP_1)
	v_pk_fma_f32 v[62:63], v[38:39], v[36:37], v[26:27]
	s_clause 0x1
	scratch_load_b64 v[26:27], off, off offset:1756
	scratch_load_b64 v[36:37], off, off offset:1764
	s_wait_loadcnt 0x1
	v_pk_add_f32 v[26:27], v[26:27], v[24:25] neg_lo:[0,1] neg_hi:[0,1]
	s_wait_loadcnt 0x0
	v_pk_add_f32 v[36:37], v[36:37], v[24:25] neg_lo:[0,1] neg_hi:[0,1]
	s_delay_alu instid0(VALU_DEP_2) | instskip(NEXT) | instid1(VALU_DEP_2)
	v_pk_mul_f32 v[26:27], v[26:27], v[26:27]
	v_pk_mul_f32 v[36:37], v[36:37], v[36:37]
	s_delay_alu instid0(VALU_DEP_2) | instskip(NEXT) | instid1(VALU_DEP_1)
	v_fma_f32 v9, v9, v9, v26
	v_add_f32_e32 v9, v9, v27
	s_delay_alu instid0(VALU_DEP_1) | instskip(SKIP_1) | instid1(VALU_DEP_1)
	v_cmp_gt_f32_e32 vcc_lo, 0xf800000, v9
	v_mul_f32_e32 v11, 0x4f800000, v9
	v_cndmask_b32_e32 v9, v9, v11, vcc_lo
	s_delay_alu instid0(VALU_DEP_1) | instskip(SKIP_1) | instid1(TRANS32_DEP_1)
	v_sqrt_f32_e32 v11, v9
	v_nop
	v_add_nc_u32_e32 v26, -1, v11
	s_delay_alu instid0(VALU_DEP_1) | instskip(NEXT) | instid1(VALU_DEP_1)
	v_fma_f32 v27, -v26, v11, v9
	v_cmp_ge_f32_e64 s0, 0, v27
	s_delay_alu instid0(VALU_DEP_1) | instskip(NEXT) | instid1(VALU_DEP_1)
	v_dual_add_nc_u32 v27, 1, v11 :: v_dual_cndmask_b32 v26, v11, v26, s0
	v_fma_f32 v11, -v27, v11, v9
	s_delay_alu instid0(VALU_DEP_1) | instskip(NEXT) | instid1(VALU_DEP_1)
	v_cmp_lt_f32_e64 s0, 0, v11
	v_cndmask_b32_e64 v11, v26, v27, s0
	s_delay_alu instid0(VALU_DEP_1) | instskip(NEXT) | instid1(VALU_DEP_1)
	v_mul_f32_e32 v26, 0x37800000, v11
	v_cndmask_b32_e32 v11, v11, v26, vcc_lo
	v_cmp_class_f32_e64 vcc_lo, v9, 0x260
	s_delay_alu instid0(VALU_DEP_2) | instskip(NEXT) | instid1(VALU_DEP_1)
	v_dual_cndmask_b32 v26, v11, v9 :: v_dual_sub_f32 v9, v120, v115
	v_fma_f32 v9, v9, v9, v36
	s_delay_alu instid0(VALU_DEP_1) | instskip(NEXT) | instid1(VALU_DEP_1)
	v_add_f32_e32 v9, v9, v37
	v_cmp_gt_f32_e32 vcc_lo, 0xf800000, v9
	v_mul_f32_e32 v11, 0x4f800000, v9
	s_delay_alu instid0(VALU_DEP_1) | instskip(NEXT) | instid1(VALU_DEP_1)
	v_cndmask_b32_e32 v9, v9, v11, vcc_lo
	v_sqrt_f32_e32 v11, v9
	v_nop
	s_delay_alu instid0(TRANS32_DEP_1) | instskip(NEXT) | instid1(VALU_DEP_1)
	v_add_nc_u32_e32 v27, -1, v11
	v_fma_f32 v36, -v27, v11, v9
	s_delay_alu instid0(VALU_DEP_1) | instskip(SKIP_1) | instid1(VALU_DEP_2)
	v_cmp_ge_f32_e64 s0, 0, v36
	v_add_nc_u32_e32 v36, 1, v11
	v_cndmask_b32_e64 v27, v11, v27, s0
	s_delay_alu instid0(VALU_DEP_2) | instskip(NEXT) | instid1(VALU_DEP_1)
	v_fma_f32 v11, -v36, v11, v9
	v_cmp_lt_f32_e64 s0, 0, v11
	s_delay_alu instid0(VALU_DEP_1) | instskip(NEXT) | instid1(VALU_DEP_1)
	v_cndmask_b32_e64 v11, v27, v36, s0
	v_mul_f32_e32 v27, 0x37800000, v11
	s_delay_alu instid0(VALU_DEP_1) | instskip(SKIP_1) | instid1(VALU_DEP_2)
	v_cndmask_b32_e32 v11, v11, v27, vcc_lo
	v_cmp_class_f32_e64 vcc_lo, v9, 0x260
	v_cndmask_b32_e32 v27, v11, v9, vcc_lo
	s_delay_alu instid0(VALU_DEP_1) | instskip(SKIP_2) | instid1(VALU_DEP_3)
	v_pk_add_f32 v[36:37], v[26:27], v[10:11] op_sel_hi:[1,0] neg_lo:[0,1] neg_hi:[0,1]
	v_pk_fma_f32 v[26:27], v[8:9], v[26:27], 1.0 op_sel_hi:[0,1,0] neg_lo:[1,0,0] neg_hi:[1,0,0]
	v_sub_f32_e32 v9, v68, v115
	v_cmp_gt_f32_e32 vcc_lo, 0, v36
	s_delay_alu instid0(VALU_DEP_4) | instskip(SKIP_3) | instid1(VALU_DEP_4)
	v_cmp_gt_f32_e64 s0, 0, v37
	v_cmp_gt_f32_e64 s1, s34, v36
	;; [unrolled: 1-line block ×3, first 2 shown]
	v_cndmask_b32_e64 v38, 0, 0x42980000, vcc_lo
	v_cndmask_b32_e64 v39, 0, 0x42980000, s0
	s_delay_alu instid0(VALU_DEP_4) | instskip(NEXT) | instid1(VALU_DEP_4)
	v_cndmask_b32_e64 v40, 0, 1.0, s1
	v_cndmask_b32_e64 v41, 0, 1.0, s3
	v_cmp_gt_f32_e64 s1, s31, v37
	v_cmp_gt_f32_e64 s3, s31, v36
	v_pk_fma_f32 v[26:27], v[26:27], v[38:39], v[64:65]
	v_pk_fma_f32 v[38:39], s[18:19], v[36:37], 1.0 op_sel_hi:[0,1,0] neg_lo:[1,0,0] neg_hi:[1,0,0]
	s_and_b32 s1, s30, s1
	s_and_b32 s3, s30, s3
	s_delay_alu instid0(VALU_DEP_1) | instskip(NEXT) | instid1(VALU_DEP_2)
	v_cndmask_b32_e64 v39, v39, 1.0, s0
	v_cndmask_b32_e64 v38, v38, 1.0, vcc_lo
	s_delay_alu instid0(VALU_DEP_1) | instskip(NEXT) | instid1(VALU_DEP_1)
	v_pk_mul_f32 v[38:39], v[40:41], v[38:39]
	v_pk_mul_f32 v[38:39], v[30:31], v[38:39] op_sel_hi:[0,1]
	s_delay_alu instid0(VALU_DEP_1) | instskip(NEXT) | instid1(VALU_DEP_2)
	v_cndmask_b32_e64 v39, v39, -|v39|, s33
	v_cndmask_b32_e64 v38, v38, -|v38|, s33
	s_delay_alu instid0(VALU_DEP_1) | instskip(SKIP_3) | instid1(VALU_DEP_3)
	v_pk_fma_f32 v[26:27], v[38:39], s[12:13], v[26:27] op_sel_hi:[1,0,1]
	v_pk_fma_f32 v[38:39], v[28:29], v[36:37], 1.0 op_sel_hi:[0,1,0] neg_lo:[1,0,0] neg_hi:[1,0,0]
	v_cndmask_b32_e64 v37, 0, 1.0, s1
	v_cndmask_b32_e64 v36, 0, 1.0, s3
	;; [unrolled: 1-line block ×3, first 2 shown]
	s_delay_alu instid0(VALU_DEP_4) | instskip(NEXT) | instid1(VALU_DEP_3)
	v_cndmask_b32_e64 v38, v38, 1.0, vcc_lo
	v_pk_mul_f32 v[36:37], s[16:17], v[36:37] op_sel_hi:[0,1]
	s_delay_alu instid0(VALU_DEP_1) | instskip(SKIP_2) | instid1(VALU_DEP_2)
	v_pk_fma_f32 v[64:65], v[38:39], v[36:37], v[26:27]
	v_pk_add_f32 v[26:27], v[0:1], v[24:25] neg_lo:[0,1] neg_hi:[0,1]
	v_pk_add_f32 v[36:37], v[2:3], v[24:25] neg_lo:[0,1] neg_hi:[0,1]
	v_pk_mul_f32 v[26:27], v[26:27], v[26:27]
	s_delay_alu instid0(VALU_DEP_2) | instskip(NEXT) | instid1(VALU_DEP_2)
	v_pk_mul_f32 v[36:37], v[36:37], v[36:37]
	v_fma_f32 v9, v9, v9, v26
	s_delay_alu instid0(VALU_DEP_1) | instskip(NEXT) | instid1(VALU_DEP_1)
	v_add_f32_e32 v9, v9, v27
	v_cmp_gt_f32_e32 vcc_lo, 0xf800000, v9
	v_mul_f32_e32 v11, 0x4f800000, v9
	s_delay_alu instid0(VALU_DEP_1) | instskip(NEXT) | instid1(VALU_DEP_1)
	v_cndmask_b32_e32 v9, v9, v11, vcc_lo
	v_sqrt_f32_e32 v11, v9
	v_nop
	s_delay_alu instid0(TRANS32_DEP_1) | instskip(NEXT) | instid1(VALU_DEP_1)
	v_add_nc_u32_e32 v26, -1, v11
	v_fma_f32 v27, -v26, v11, v9
	s_delay_alu instid0(VALU_DEP_1) | instskip(NEXT) | instid1(VALU_DEP_1)
	v_cmp_ge_f32_e64 s0, 0, v27
	v_dual_add_nc_u32 v27, 1, v11 :: v_dual_cndmask_b32 v26, v11, v26, s0
	s_delay_alu instid0(VALU_DEP_1) | instskip(NEXT) | instid1(VALU_DEP_1)
	v_fma_f32 v11, -v27, v11, v9
	v_cmp_lt_f32_e64 s0, 0, v11
	s_delay_alu instid0(VALU_DEP_1) | instskip(NEXT) | instid1(VALU_DEP_1)
	v_cndmask_b32_e64 v11, v26, v27, s0
	v_mul_f32_e32 v26, 0x37800000, v11
	s_delay_alu instid0(VALU_DEP_1) | instskip(SKIP_1) | instid1(VALU_DEP_2)
	v_cndmask_b32_e32 v11, v11, v26, vcc_lo
	v_cmp_class_f32_e64 vcc_lo, v9, 0x260
	v_dual_cndmask_b32 v26, v11, v9 :: v_dual_sub_f32 v9, v76, v115
	s_delay_alu instid0(VALU_DEP_1) | instskip(NEXT) | instid1(VALU_DEP_1)
	v_fma_f32 v9, v9, v9, v36
	v_add_f32_e32 v9, v9, v37
	s_delay_alu instid0(VALU_DEP_1) | instskip(SKIP_1) | instid1(VALU_DEP_1)
	v_cmp_gt_f32_e32 vcc_lo, 0xf800000, v9
	v_mul_f32_e32 v11, 0x4f800000, v9
	v_cndmask_b32_e32 v9, v9, v11, vcc_lo
	s_delay_alu instid0(VALU_DEP_1) | instskip(SKIP_1) | instid1(TRANS32_DEP_1)
	v_sqrt_f32_e32 v11, v9
	v_nop
	v_add_nc_u32_e32 v27, -1, v11
	s_delay_alu instid0(VALU_DEP_1) | instskip(NEXT) | instid1(VALU_DEP_1)
	v_fma_f32 v36, -v27, v11, v9
	v_cmp_ge_f32_e64 s0, 0, v36
	v_add_nc_u32_e32 v36, 1, v11
	s_delay_alu instid0(VALU_DEP_2) | instskip(NEXT) | instid1(VALU_DEP_2)
	v_cndmask_b32_e64 v27, v11, v27, s0
	v_fma_f32 v11, -v36, v11, v9
	s_delay_alu instid0(VALU_DEP_1) | instskip(NEXT) | instid1(VALU_DEP_1)
	v_cmp_lt_f32_e64 s0, 0, v11
	v_cndmask_b32_e64 v11, v27, v36, s0
	s_delay_alu instid0(VALU_DEP_1) | instskip(NEXT) | instid1(VALU_DEP_1)
	v_mul_f32_e32 v27, 0x37800000, v11
	v_cndmask_b32_e32 v11, v11, v27, vcc_lo
	v_cmp_class_f32_e64 vcc_lo, v9, 0x260
	s_delay_alu instid0(VALU_DEP_2) | instskip(NEXT) | instid1(VALU_DEP_1)
	v_cndmask_b32_e32 v27, v11, v9, vcc_lo
	v_pk_add_f32 v[36:37], v[26:27], v[10:11] op_sel_hi:[1,0] neg_lo:[0,1] neg_hi:[0,1]
	v_pk_fma_f32 v[26:27], v[8:9], v[26:27], 1.0 op_sel_hi:[0,1,0] neg_lo:[1,0,0] neg_hi:[1,0,0]
	v_sub_f32_e32 v9, v51, v115
	s_delay_alu instid0(VALU_DEP_3) | instskip(NEXT) | instid1(VALU_DEP_4)
	v_cmp_gt_f32_e32 vcc_lo, 0, v36
	v_cmp_gt_f32_e64 s0, 0, v37
	v_cmp_gt_f32_e64 s1, s34, v36
	v_cmp_gt_f32_e64 s3, s34, v37
	v_cndmask_b32_e64 v38, 0, 0x42980000, vcc_lo
	s_delay_alu instid0(VALU_DEP_4) | instskip(NEXT) | instid1(VALU_DEP_4)
	v_cndmask_b32_e64 v39, 0, 0x42980000, s0
	v_cndmask_b32_e64 v40, 0, 1.0, s1
	s_delay_alu instid0(VALU_DEP_4)
	v_cndmask_b32_e64 v41, 0, 1.0, s3
	v_cmp_gt_f32_e64 s1, s31, v37
	v_cmp_gt_f32_e64 s3, s31, v36
	v_pk_fma_f32 v[26:27], v[26:27], v[38:39], v[56:57]
	v_pk_fma_f32 v[38:39], s[18:19], v[36:37], 1.0 op_sel_hi:[0,1,0] neg_lo:[1,0,0] neg_hi:[1,0,0]
	s_and_b32 s1, s30, s1
	s_and_b32 s3, s30, s3
	s_delay_alu instid0(VALU_DEP_1) | instskip(NEXT) | instid1(VALU_DEP_2)
	v_cndmask_b32_e64 v39, v39, 1.0, s0
	v_cndmask_b32_e64 v38, v38, 1.0, vcc_lo
	s_delay_alu instid0(VALU_DEP_1) | instskip(NEXT) | instid1(VALU_DEP_1)
	v_pk_mul_f32 v[38:39], v[40:41], v[38:39]
	v_pk_mul_f32 v[38:39], v[30:31], v[38:39] op_sel_hi:[0,1]
	s_delay_alu instid0(VALU_DEP_1) | instskip(NEXT) | instid1(VALU_DEP_2)
	v_cndmask_b32_e64 v39, v39, -|v39|, s33
	v_cndmask_b32_e64 v38, v38, -|v38|, s33
	s_delay_alu instid0(VALU_DEP_1) | instskip(SKIP_3) | instid1(VALU_DEP_3)
	v_pk_fma_f32 v[26:27], v[38:39], s[12:13], v[26:27] op_sel_hi:[1,0,1]
	v_pk_fma_f32 v[38:39], v[28:29], v[36:37], 1.0 op_sel_hi:[0,1,0] neg_lo:[1,0,0] neg_hi:[1,0,0]
	v_cndmask_b32_e64 v37, 0, 1.0, s1
	v_cndmask_b32_e64 v36, 0, 1.0, s3
	v_cndmask_b32_e64 v39, v39, 1.0, s0
	s_delay_alu instid0(VALU_DEP_4) | instskip(NEXT) | instid1(VALU_DEP_3)
	v_cndmask_b32_e64 v38, v38, 1.0, vcc_lo
	v_pk_mul_f32 v[36:37], s[16:17], v[36:37] op_sel_hi:[0,1]
	s_delay_alu instid0(VALU_DEP_1) | instskip(SKIP_2) | instid1(VALU_DEP_2)
	v_pk_fma_f32 v[56:57], v[38:39], v[36:37], v[26:27]
	v_pk_add_f32 v[26:27], v[104:105], v[24:25] neg_lo:[0,1] neg_hi:[0,1]
	v_pk_add_f32 v[36:37], v[124:125], v[24:25] neg_lo:[0,1] neg_hi:[0,1]
	v_pk_mul_f32 v[26:27], v[26:27], v[26:27]
	s_delay_alu instid0(VALU_DEP_2) | instskip(NEXT) | instid1(VALU_DEP_2)
	v_pk_mul_f32 v[36:37], v[36:37], v[36:37]
	v_fma_f32 v9, v9, v9, v26
	s_delay_alu instid0(VALU_DEP_1) | instskip(NEXT) | instid1(VALU_DEP_1)
	v_add_f32_e32 v9, v9, v27
	v_cmp_gt_f32_e32 vcc_lo, 0xf800000, v9
	v_mul_f32_e32 v11, 0x4f800000, v9
	s_delay_alu instid0(VALU_DEP_1) | instskip(NEXT) | instid1(VALU_DEP_1)
	v_cndmask_b32_e32 v9, v9, v11, vcc_lo
	v_sqrt_f32_e32 v11, v9
	v_nop
	s_delay_alu instid0(TRANS32_DEP_1) | instskip(NEXT) | instid1(VALU_DEP_1)
	v_add_nc_u32_e32 v26, -1, v11
	v_fma_f32 v27, -v26, v11, v9
	s_delay_alu instid0(VALU_DEP_1) | instskip(NEXT) | instid1(VALU_DEP_1)
	v_cmp_ge_f32_e64 s0, 0, v27
	v_dual_add_nc_u32 v27, 1, v11 :: v_dual_cndmask_b32 v26, v11, v26, s0
	s_delay_alu instid0(VALU_DEP_1) | instskip(NEXT) | instid1(VALU_DEP_1)
	v_fma_f32 v11, -v27, v11, v9
	v_cmp_lt_f32_e64 s0, 0, v11
	s_delay_alu instid0(VALU_DEP_1) | instskip(NEXT) | instid1(VALU_DEP_1)
	v_cndmask_b32_e64 v11, v26, v27, s0
	v_mul_f32_e32 v26, 0x37800000, v11
	s_delay_alu instid0(VALU_DEP_1) | instskip(SKIP_1) | instid1(VALU_DEP_2)
	v_cndmask_b32_e32 v11, v11, v26, vcc_lo
	v_cmp_class_f32_e64 vcc_lo, v9, 0x260
	v_dual_cndmask_b32 v26, v11, v9 :: v_dual_sub_f32 v9, v85, v115
	s_delay_alu instid0(VALU_DEP_1) | instskip(NEXT) | instid1(VALU_DEP_1)
	v_fma_f32 v9, v9, v9, v36
	v_add_f32_e32 v9, v9, v37
	s_delay_alu instid0(VALU_DEP_1) | instskip(SKIP_1) | instid1(VALU_DEP_1)
	v_cmp_gt_f32_e32 vcc_lo, 0xf800000, v9
	v_mul_f32_e32 v11, 0x4f800000, v9
	v_cndmask_b32_e32 v9, v9, v11, vcc_lo
	s_delay_alu instid0(VALU_DEP_1) | instskip(SKIP_1) | instid1(TRANS32_DEP_1)
	v_sqrt_f32_e32 v11, v9
	v_nop
	v_add_nc_u32_e32 v27, -1, v11
	s_delay_alu instid0(VALU_DEP_1) | instskip(NEXT) | instid1(VALU_DEP_1)
	v_fma_f32 v36, -v27, v11, v9
	v_cmp_ge_f32_e64 s0, 0, v36
	v_add_nc_u32_e32 v36, 1, v11
	s_delay_alu instid0(VALU_DEP_2) | instskip(NEXT) | instid1(VALU_DEP_2)
	v_cndmask_b32_e64 v27, v11, v27, s0
	v_fma_f32 v11, -v36, v11, v9
	s_delay_alu instid0(VALU_DEP_1) | instskip(NEXT) | instid1(VALU_DEP_1)
	v_cmp_lt_f32_e64 s0, 0, v11
	v_cndmask_b32_e64 v11, v27, v36, s0
	s_delay_alu instid0(VALU_DEP_1) | instskip(NEXT) | instid1(VALU_DEP_1)
	v_mul_f32_e32 v27, 0x37800000, v11
	v_cndmask_b32_e32 v11, v11, v27, vcc_lo
	v_cmp_class_f32_e64 vcc_lo, v9, 0x260
	s_delay_alu instid0(VALU_DEP_2) | instskip(NEXT) | instid1(VALU_DEP_1)
	v_cndmask_b32_e32 v27, v11, v9, vcc_lo
	v_pk_add_f32 v[36:37], v[26:27], v[10:11] op_sel_hi:[1,0] neg_lo:[0,1] neg_hi:[0,1]
	v_pk_fma_f32 v[26:27], v[8:9], v[26:27], 1.0 op_sel_hi:[0,1,0] neg_lo:[1,0,0] neg_hi:[1,0,0]
	v_sub_f32_e32 v9, v35, v115
	s_delay_alu instid0(VALU_DEP_3) | instskip(NEXT) | instid1(VALU_DEP_4)
	v_cmp_gt_f32_e32 vcc_lo, 0, v36
	v_cmp_gt_f32_e64 s0, 0, v37
	v_cmp_gt_f32_e64 s1, s34, v36
	;; [unrolled: 1-line block ×3, first 2 shown]
	v_cndmask_b32_e64 v38, 0, 0x42980000, vcc_lo
	s_delay_alu instid0(VALU_DEP_4) | instskip(NEXT) | instid1(VALU_DEP_4)
	v_cndmask_b32_e64 v39, 0, 0x42980000, s0
	v_cndmask_b32_e64 v40, 0, 1.0, s1
	s_delay_alu instid0(VALU_DEP_4)
	v_cndmask_b32_e64 v41, 0, 1.0, s3
	v_cmp_gt_f32_e64 s1, s31, v37
	v_cmp_gt_f32_e64 s3, s31, v36
	v_pk_fma_f32 v[26:27], v[26:27], v[38:39], v[58:59]
	v_pk_fma_f32 v[38:39], s[18:19], v[36:37], 1.0 op_sel_hi:[0,1,0] neg_lo:[1,0,0] neg_hi:[1,0,0]
	s_and_b32 s1, s30, s1
	s_and_b32 s3, s30, s3
	s_delay_alu instid0(VALU_DEP_1) | instskip(NEXT) | instid1(VALU_DEP_2)
	v_cndmask_b32_e64 v39, v39, 1.0, s0
	v_cndmask_b32_e64 v38, v38, 1.0, vcc_lo
	s_delay_alu instid0(VALU_DEP_1) | instskip(NEXT) | instid1(VALU_DEP_1)
	v_pk_mul_f32 v[38:39], v[40:41], v[38:39]
	v_pk_mul_f32 v[38:39], v[30:31], v[38:39] op_sel_hi:[0,1]
	s_delay_alu instid0(VALU_DEP_1) | instskip(NEXT) | instid1(VALU_DEP_2)
	v_cndmask_b32_e64 v39, v39, -|v39|, s33
	v_cndmask_b32_e64 v38, v38, -|v38|, s33
	s_delay_alu instid0(VALU_DEP_1) | instskip(SKIP_3) | instid1(VALU_DEP_3)
	v_pk_fma_f32 v[26:27], v[38:39], s[12:13], v[26:27] op_sel_hi:[1,0,1]
	v_pk_fma_f32 v[38:39], v[28:29], v[36:37], 1.0 op_sel_hi:[0,1,0] neg_lo:[1,0,0] neg_hi:[1,0,0]
	v_cndmask_b32_e64 v37, 0, 1.0, s1
	v_cndmask_b32_e64 v36, 0, 1.0, s3
	v_cndmask_b32_e64 v39, v39, 1.0, s0
	s_delay_alu instid0(VALU_DEP_4) | instskip(NEXT) | instid1(VALU_DEP_3)
	v_cndmask_b32_e64 v38, v38, 1.0, vcc_lo
	v_pk_mul_f32 v[36:37], s[16:17], v[36:37] op_sel_hi:[0,1]
	s_delay_alu instid0(VALU_DEP_1) | instskip(SKIP_2) | instid1(VALU_DEP_2)
	v_pk_fma_f32 v[58:59], v[38:39], v[36:37], v[26:27]
	v_pk_add_f32 v[26:27], v[102:103], v[24:25] neg_lo:[0,1] neg_hi:[0,1]
	v_pk_add_f32 v[36:37], v[54:55], v[24:25] neg_lo:[0,1] neg_hi:[0,1]
	v_pk_mul_f32 v[26:27], v[26:27], v[26:27]
	s_delay_alu instid0(VALU_DEP_2) | instskip(NEXT) | instid1(VALU_DEP_2)
	v_pk_mul_f32 v[36:37], v[36:37], v[36:37]
	v_fma_f32 v9, v9, v9, v26
	s_delay_alu instid0(VALU_DEP_1) | instskip(NEXT) | instid1(VALU_DEP_1)
	v_add_f32_e32 v9, v9, v27
	v_cmp_gt_f32_e32 vcc_lo, 0xf800000, v9
	v_mul_f32_e32 v11, 0x4f800000, v9
	s_delay_alu instid0(VALU_DEP_1) | instskip(NEXT) | instid1(VALU_DEP_1)
	v_cndmask_b32_e32 v9, v9, v11, vcc_lo
	v_sqrt_f32_e32 v11, v9
	v_nop
	s_delay_alu instid0(TRANS32_DEP_1) | instskip(NEXT) | instid1(VALU_DEP_1)
	v_add_nc_u32_e32 v26, -1, v11
	v_fma_f32 v27, -v26, v11, v9
	s_delay_alu instid0(VALU_DEP_1) | instskip(NEXT) | instid1(VALU_DEP_1)
	v_cmp_ge_f32_e64 s0, 0, v27
	v_dual_add_nc_u32 v27, 1, v11 :: v_dual_cndmask_b32 v26, v11, v26, s0
	s_delay_alu instid0(VALU_DEP_1) | instskip(NEXT) | instid1(VALU_DEP_1)
	v_fma_f32 v11, -v27, v11, v9
	v_cmp_lt_f32_e64 s0, 0, v11
	s_delay_alu instid0(VALU_DEP_1) | instskip(NEXT) | instid1(VALU_DEP_1)
	v_cndmask_b32_e64 v11, v26, v27, s0
	v_mul_f32_e32 v26, 0x37800000, v11
	s_delay_alu instid0(VALU_DEP_1) | instskip(SKIP_1) | instid1(VALU_DEP_2)
	v_cndmask_b32_e32 v11, v11, v26, vcc_lo
	v_cmp_class_f32_e64 vcc_lo, v9, 0x260
	v_cndmask_b32_e32 v26, v11, v9, vcc_lo
	v_sub_f32_e32 v9, v47, v115
	s_delay_alu instid0(VALU_DEP_1) | instskip(NEXT) | instid1(VALU_DEP_1)
	v_fma_f32 v9, v9, v9, v36
	v_add_f32_e32 v9, v9, v37
	s_delay_alu instid0(VALU_DEP_1) | instskip(SKIP_1) | instid1(VALU_DEP_1)
	v_cmp_gt_f32_e32 vcc_lo, 0xf800000, v9
	v_mul_f32_e32 v11, 0x4f800000, v9
	v_cndmask_b32_e32 v9, v9, v11, vcc_lo
	s_delay_alu instid0(VALU_DEP_1) | instskip(SKIP_1) | instid1(TRANS32_DEP_1)
	v_sqrt_f32_e32 v11, v9
	v_nop
	v_add_nc_u32_e32 v27, -1, v11
	s_delay_alu instid0(VALU_DEP_1) | instskip(NEXT) | instid1(VALU_DEP_1)
	v_fma_f32 v36, -v27, v11, v9
	v_cmp_ge_f32_e64 s0, 0, v36
	v_add_nc_u32_e32 v36, 1, v11
	s_delay_alu instid0(VALU_DEP_2) | instskip(NEXT) | instid1(VALU_DEP_2)
	v_cndmask_b32_e64 v27, v11, v27, s0
	v_fma_f32 v11, -v36, v11, v9
	s_delay_alu instid0(VALU_DEP_1) | instskip(NEXT) | instid1(VALU_DEP_1)
	v_cmp_lt_f32_e64 s0, 0, v11
	v_cndmask_b32_e64 v11, v27, v36, s0
	s_delay_alu instid0(VALU_DEP_1) | instskip(NEXT) | instid1(VALU_DEP_1)
	v_mul_f32_e32 v27, 0x37800000, v11
	v_cndmask_b32_e32 v11, v11, v27, vcc_lo
	v_cmp_class_f32_e64 vcc_lo, v9, 0x260
	s_delay_alu instid0(VALU_DEP_2) | instskip(NEXT) | instid1(VALU_DEP_1)
	v_cndmask_b32_e32 v27, v11, v9, vcc_lo
	v_pk_add_f32 v[36:37], v[26:27], v[10:11] op_sel_hi:[1,0] neg_lo:[0,1] neg_hi:[0,1]
	v_pk_fma_f32 v[26:27], v[8:9], v[26:27], 1.0 op_sel_hi:[0,1,0] neg_lo:[1,0,0] neg_hi:[1,0,0]
	v_sub_f32_e32 v9, v77, v115
	s_delay_alu instid0(VALU_DEP_3) | instskip(NEXT) | instid1(VALU_DEP_4)
	v_cmp_gt_f32_e32 vcc_lo, 0, v36
	v_cmp_gt_f32_e64 s0, 0, v37
	v_cmp_gt_f32_e64 s1, s34, v36
	;; [unrolled: 1-line block ×3, first 2 shown]
	v_cndmask_b32_e64 v38, 0, 0x42980000, vcc_lo
	s_delay_alu instid0(VALU_DEP_4) | instskip(NEXT) | instid1(VALU_DEP_1)
	v_cndmask_b32_e64 v39, 0, 0x42980000, s0
	v_pk_fma_f32 v[20:21], v[26:27], v[38:39], v[20:21]
	v_pk_fma_f32 v[26:27], s[18:19], v[36:37], 1.0 op_sel_hi:[0,1,0] neg_lo:[1,0,0] neg_hi:[1,0,0]
	v_cndmask_b32_e64 v39, 0, 1.0, s3
	v_cndmask_b32_e64 v38, 0, 1.0, s1
	v_cmp_gt_f32_e64 s1, s31, v37
	v_cmp_gt_f32_e64 s3, s31, v36
	v_cndmask_b32_e64 v27, v27, 1.0, s0
	v_cndmask_b32_e64 v26, v26, 1.0, vcc_lo
	s_and_b32 s1, s30, s1
	s_and_b32 s3, s30, s3
	s_delay_alu instid0(VALU_DEP_1) | instskip(NEXT) | instid1(VALU_DEP_1)
	v_pk_mul_f32 v[26:27], v[38:39], v[26:27]
	v_pk_mul_f32 v[26:27], v[30:31], v[26:27] op_sel_hi:[0,1]
	s_delay_alu instid0(VALU_DEP_1) | instskip(NEXT) | instid1(VALU_DEP_2)
	v_cndmask_b32_e64 v27, v27, -|v27|, s33
	v_cndmask_b32_e64 v26, v26, -|v26|, s33
	s_delay_alu instid0(VALU_DEP_1) | instskip(SKIP_3) | instid1(VALU_DEP_3)
	v_pk_fma_f32 v[20:21], v[26:27], s[12:13], v[20:21] op_sel_hi:[1,0,1]
	v_pk_fma_f32 v[26:27], v[28:29], v[36:37], 1.0 op_sel_hi:[0,1,0] neg_lo:[1,0,0] neg_hi:[1,0,0]
	v_cndmask_b32_e64 v37, 0, 1.0, s1
	v_cndmask_b32_e64 v36, 0, 1.0, s3
	;; [unrolled: 1-line block ×3, first 2 shown]
	s_delay_alu instid0(VALU_DEP_4) | instskip(NEXT) | instid1(VALU_DEP_3)
	v_cndmask_b32_e64 v26, v26, 1.0, vcc_lo
	v_pk_mul_f32 v[36:37], s[16:17], v[36:37] op_sel_hi:[0,1]
	s_delay_alu instid0(VALU_DEP_1) | instskip(SKIP_2) | instid1(VALU_DEP_2)
	v_pk_fma_f32 v[20:21], v[26:27], v[36:37], v[20:21]
	v_pk_add_f32 v[26:27], v[118:119], v[24:25] neg_lo:[0,1] neg_hi:[0,1]
	v_pk_add_f32 v[36:37], v[66:67], v[24:25] neg_lo:[0,1] neg_hi:[0,1]
	v_pk_mul_f32 v[26:27], v[26:27], v[26:27]
	s_delay_alu instid0(VALU_DEP_2) | instskip(NEXT) | instid1(VALU_DEP_2)
	v_pk_mul_f32 v[36:37], v[36:37], v[36:37]
	v_fma_f32 v9, v9, v9, v26
	s_delay_alu instid0(VALU_DEP_1) | instskip(NEXT) | instid1(VALU_DEP_1)
	v_add_f32_e32 v9, v9, v27
	v_cmp_gt_f32_e32 vcc_lo, 0xf800000, v9
	v_mul_f32_e32 v11, 0x4f800000, v9
	s_delay_alu instid0(VALU_DEP_1) | instskip(NEXT) | instid1(VALU_DEP_1)
	v_cndmask_b32_e32 v9, v9, v11, vcc_lo
	v_sqrt_f32_e32 v11, v9
	v_nop
	s_delay_alu instid0(TRANS32_DEP_1) | instskip(NEXT) | instid1(VALU_DEP_1)
	v_add_nc_u32_e32 v26, -1, v11
	v_fma_f32 v27, -v26, v11, v9
	s_delay_alu instid0(VALU_DEP_1) | instskip(NEXT) | instid1(VALU_DEP_1)
	v_cmp_ge_f32_e64 s0, 0, v27
	v_dual_add_nc_u32 v27, 1, v11 :: v_dual_cndmask_b32 v26, v11, v26, s0
	s_delay_alu instid0(VALU_DEP_1) | instskip(NEXT) | instid1(VALU_DEP_1)
	v_fma_f32 v11, -v27, v11, v9
	v_cmp_lt_f32_e64 s0, 0, v11
	s_delay_alu instid0(VALU_DEP_1) | instskip(NEXT) | instid1(VALU_DEP_1)
	v_cndmask_b32_e64 v11, v26, v27, s0
	v_mul_f32_e32 v26, 0x37800000, v11
	s_delay_alu instid0(VALU_DEP_1) | instskip(SKIP_1) | instid1(VALU_DEP_2)
	v_cndmask_b32_e32 v11, v11, v26, vcc_lo
	v_cmp_class_f32_e64 vcc_lo, v9, 0x260
	v_cndmask_b32_e32 v26, v11, v9, vcc_lo
	v_sub_f32_e32 v9, v15, v115
	s_delay_alu instid0(VALU_DEP_1) | instskip(NEXT) | instid1(VALU_DEP_1)
	v_fma_f32 v9, v9, v9, v36
	v_add_f32_e32 v9, v9, v37
	s_delay_alu instid0(VALU_DEP_1) | instskip(SKIP_1) | instid1(VALU_DEP_1)
	v_cmp_gt_f32_e32 vcc_lo, 0xf800000, v9
	v_mul_f32_e32 v11, 0x4f800000, v9
	v_cndmask_b32_e32 v9, v9, v11, vcc_lo
	s_delay_alu instid0(VALU_DEP_1) | instskip(SKIP_1) | instid1(TRANS32_DEP_1)
	v_sqrt_f32_e32 v11, v9
	v_nop
	v_add_nc_u32_e32 v27, -1, v11
	s_delay_alu instid0(VALU_DEP_1) | instskip(NEXT) | instid1(VALU_DEP_1)
	v_fma_f32 v36, -v27, v11, v9
	v_cmp_ge_f32_e64 s0, 0, v36
	v_add_nc_u32_e32 v36, 1, v11
	s_delay_alu instid0(VALU_DEP_2) | instskip(NEXT) | instid1(VALU_DEP_2)
	v_cndmask_b32_e64 v27, v11, v27, s0
	v_fma_f32 v11, -v36, v11, v9
	s_delay_alu instid0(VALU_DEP_1) | instskip(NEXT) | instid1(VALU_DEP_1)
	v_cmp_lt_f32_e64 s0, 0, v11
	v_cndmask_b32_e64 v11, v27, v36, s0
	s_delay_alu instid0(VALU_DEP_1) | instskip(NEXT) | instid1(VALU_DEP_1)
	v_mul_f32_e32 v27, 0x37800000, v11
	v_cndmask_b32_e32 v11, v11, v27, vcc_lo
	v_cmp_class_f32_e64 vcc_lo, v9, 0x260
	s_delay_alu instid0(VALU_DEP_2) | instskip(NEXT) | instid1(VALU_DEP_1)
	v_cndmask_b32_e32 v27, v11, v9, vcc_lo
	v_pk_add_f32 v[36:37], v[26:27], v[10:11] op_sel_hi:[1,0] neg_lo:[0,1] neg_hi:[0,1]
	v_pk_fma_f32 v[26:27], v[8:9], v[26:27], 1.0 op_sel_hi:[0,1,0] neg_lo:[1,0,0] neg_hi:[1,0,0]
	v_sub_f32_e32 v9, v16, v115
	s_delay_alu instid0(VALU_DEP_3) | instskip(NEXT) | instid1(VALU_DEP_4)
	v_cmp_gt_f32_e32 vcc_lo, 0, v36
	v_cmp_gt_f32_e64 s0, 0, v37
	v_cmp_gt_f32_e64 s1, s34, v36
	;; [unrolled: 1-line block ×3, first 2 shown]
	v_cndmask_b32_e64 v38, 0, 0x42980000, vcc_lo
	s_delay_alu instid0(VALU_DEP_4) | instskip(NEXT) | instid1(VALU_DEP_1)
	v_cndmask_b32_e64 v39, 0, 0x42980000, s0
	v_pk_fma_f32 v[22:23], v[26:27], v[38:39], v[22:23]
	v_pk_fma_f32 v[26:27], s[18:19], v[36:37], 1.0 op_sel_hi:[0,1,0] neg_lo:[1,0,0] neg_hi:[1,0,0]
	v_cndmask_b32_e64 v39, 0, 1.0, s3
	v_cndmask_b32_e64 v38, 0, 1.0, s1
	v_cmp_gt_f32_e64 s1, s31, v37
	v_cmp_gt_f32_e64 s3, s31, v36
	v_cndmask_b32_e64 v27, v27, 1.0, s0
	v_cndmask_b32_e64 v26, v26, 1.0, vcc_lo
	s_and_b32 s1, s30, s1
	s_and_b32 s3, s30, s3
	s_delay_alu instid0(VALU_DEP_1) | instskip(NEXT) | instid1(VALU_DEP_1)
	v_pk_mul_f32 v[26:27], v[38:39], v[26:27]
	v_pk_mul_f32 v[26:27], v[30:31], v[26:27] op_sel_hi:[0,1]
	s_delay_alu instid0(VALU_DEP_1) | instskip(NEXT) | instid1(VALU_DEP_2)
	v_cndmask_b32_e64 v27, v27, -|v27|, s33
	v_cndmask_b32_e64 v26, v26, -|v26|, s33
	s_delay_alu instid0(VALU_DEP_1) | instskip(SKIP_3) | instid1(VALU_DEP_3)
	v_pk_fma_f32 v[22:23], v[26:27], s[12:13], v[22:23] op_sel_hi:[1,0,1]
	v_pk_fma_f32 v[26:27], v[28:29], v[36:37], 1.0 op_sel_hi:[0,1,0] neg_lo:[1,0,0] neg_hi:[1,0,0]
	v_cndmask_b32_e64 v37, 0, 1.0, s1
	v_cndmask_b32_e64 v36, 0, 1.0, s3
	;; [unrolled: 1-line block ×3, first 2 shown]
	s_delay_alu instid0(VALU_DEP_4) | instskip(NEXT) | instid1(VALU_DEP_3)
	v_cndmask_b32_e64 v26, v26, 1.0, vcc_lo
	v_pk_mul_f32 v[36:37], s[16:17], v[36:37] op_sel_hi:[0,1]
	s_delay_alu instid0(VALU_DEP_1) | instskip(SKIP_2) | instid1(VALU_DEP_2)
	v_pk_fma_f32 v[22:23], v[26:27], v[36:37], v[22:23]
	v_pk_add_f32 v[26:27], v[4:5], v[24:25] neg_lo:[0,1] neg_hi:[0,1]
	v_pk_add_f32 v[36:37], v[6:7], v[24:25] neg_lo:[0,1] neg_hi:[0,1]
	v_pk_mul_f32 v[26:27], v[26:27], v[26:27]
	s_delay_alu instid0(VALU_DEP_2) | instskip(NEXT) | instid1(VALU_DEP_2)
	v_pk_mul_f32 v[36:37], v[36:37], v[36:37]
	v_fma_f32 v9, v9, v9, v26
	s_delay_alu instid0(VALU_DEP_1) | instskip(NEXT) | instid1(VALU_DEP_1)
	v_add_f32_e32 v9, v9, v27
	v_cmp_gt_f32_e32 vcc_lo, 0xf800000, v9
	v_mul_f32_e32 v11, 0x4f800000, v9
	s_delay_alu instid0(VALU_DEP_1) | instskip(NEXT) | instid1(VALU_DEP_1)
	v_cndmask_b32_e32 v9, v9, v11, vcc_lo
	v_sqrt_f32_e32 v11, v9
	v_nop
	s_delay_alu instid0(TRANS32_DEP_1) | instskip(NEXT) | instid1(VALU_DEP_1)
	v_add_nc_u32_e32 v26, -1, v11
	v_fma_f32 v27, -v26, v11, v9
	s_delay_alu instid0(VALU_DEP_1) | instskip(NEXT) | instid1(VALU_DEP_1)
	v_cmp_ge_f32_e64 s0, 0, v27
	v_dual_add_nc_u32 v27, 1, v11 :: v_dual_cndmask_b32 v26, v11, v26, s0
	s_delay_alu instid0(VALU_DEP_1) | instskip(NEXT) | instid1(VALU_DEP_1)
	v_fma_f32 v11, -v27, v11, v9
	v_cmp_lt_f32_e64 s0, 0, v11
	s_delay_alu instid0(VALU_DEP_1) | instskip(NEXT) | instid1(VALU_DEP_1)
	v_cndmask_b32_e64 v11, v26, v27, s0
	v_mul_f32_e32 v26, 0x37800000, v11
	s_delay_alu instid0(VALU_DEP_1) | instskip(SKIP_1) | instid1(VALU_DEP_2)
	v_cndmask_b32_e32 v11, v11, v26, vcc_lo
	v_cmp_class_f32_e64 vcc_lo, v9, 0x260
	v_dual_cndmask_b32 v26, v11, v9 :: v_dual_sub_f32 v9, v17, v115
	s_delay_alu instid0(VALU_DEP_1) | instskip(NEXT) | instid1(VALU_DEP_1)
	v_fma_f32 v9, v9, v9, v36
	v_add_f32_e32 v9, v9, v37
	s_delay_alu instid0(VALU_DEP_1) | instskip(SKIP_1) | instid1(VALU_DEP_1)
	v_cmp_gt_f32_e32 vcc_lo, 0xf800000, v9
	v_mul_f32_e32 v11, 0x4f800000, v9
	v_cndmask_b32_e32 v9, v9, v11, vcc_lo
	s_delay_alu instid0(VALU_DEP_1) | instskip(SKIP_1) | instid1(TRANS32_DEP_1)
	v_sqrt_f32_e32 v11, v9
	v_nop
	v_add_nc_u32_e32 v27, -1, v11
	s_delay_alu instid0(VALU_DEP_1) | instskip(NEXT) | instid1(VALU_DEP_1)
	v_fma_f32 v36, -v27, v11, v9
	v_cmp_ge_f32_e64 s0, 0, v36
	v_add_nc_u32_e32 v36, 1, v11
	s_delay_alu instid0(VALU_DEP_2) | instskip(NEXT) | instid1(VALU_DEP_2)
	v_cndmask_b32_e64 v27, v11, v27, s0
	v_fma_f32 v11, -v36, v11, v9
	s_delay_alu instid0(VALU_DEP_1) | instskip(NEXT) | instid1(VALU_DEP_1)
	v_cmp_lt_f32_e64 s0, 0, v11
	v_cndmask_b32_e64 v11, v27, v36, s0
	s_delay_alu instid0(VALU_DEP_1) | instskip(NEXT) | instid1(VALU_DEP_1)
	v_mul_f32_e32 v27, 0x37800000, v11
	v_cndmask_b32_e32 v11, v11, v27, vcc_lo
	v_cmp_class_f32_e64 vcc_lo, v9, 0x260
	s_delay_alu instid0(VALU_DEP_2) | instskip(NEXT) | instid1(VALU_DEP_1)
	v_cndmask_b32_e32 v27, v11, v9, vcc_lo
	v_pk_add_f32 v[36:37], v[26:27], v[10:11] op_sel_hi:[1,0] neg_lo:[0,1] neg_hi:[0,1]
	v_pk_fma_f32 v[26:27], v[8:9], v[26:27], 1.0 op_sel_hi:[0,1,0] neg_lo:[1,0,0] neg_hi:[1,0,0]
	v_sub_f32_e32 v9, v19, v115
	s_delay_alu instid0(VALU_DEP_3) | instskip(NEXT) | instid1(VALU_DEP_4)
	v_cmp_gt_f32_e32 vcc_lo, 0, v36
	v_cmp_gt_f32_e64 s0, 0, v37
	v_cmp_gt_f32_e64 s1, s34, v36
	;; [unrolled: 1-line block ×3, first 2 shown]
	v_cndmask_b32_e64 v38, 0, 0x42980000, vcc_lo
	s_delay_alu instid0(VALU_DEP_4) | instskip(NEXT) | instid1(VALU_DEP_4)
	v_cndmask_b32_e64 v39, 0, 0x42980000, s0
	v_cndmask_b32_e64 v40, 0, 1.0, s1
	s_delay_alu instid0(VALU_DEP_4)
	v_cndmask_b32_e64 v41, 0, 1.0, s3
	v_cmp_gt_f32_e64 s1, s31, v37
	v_cmp_gt_f32_e64 s3, s31, v36
	v_pk_fma_f32 v[26:27], v[26:27], v[38:39], v[110:111]
	v_pk_fma_f32 v[38:39], s[18:19], v[36:37], 1.0 op_sel_hi:[0,1,0] neg_lo:[1,0,0] neg_hi:[1,0,0]
	s_and_b32 s1, s30, s1
	s_and_b32 s3, s30, s3
	s_delay_alu instid0(VALU_DEP_1) | instskip(NEXT) | instid1(VALU_DEP_2)
	v_cndmask_b32_e64 v39, v39, 1.0, s0
	v_cndmask_b32_e64 v38, v38, 1.0, vcc_lo
	s_delay_alu instid0(VALU_DEP_1) | instskip(NEXT) | instid1(VALU_DEP_1)
	v_pk_mul_f32 v[38:39], v[40:41], v[38:39]
	v_pk_mul_f32 v[38:39], v[30:31], v[38:39] op_sel_hi:[0,1]
	s_delay_alu instid0(VALU_DEP_1) | instskip(NEXT) | instid1(VALU_DEP_2)
	v_cndmask_b32_e64 v39, v39, -|v39|, s33
	v_cndmask_b32_e64 v38, v38, -|v38|, s33
	s_delay_alu instid0(VALU_DEP_1) | instskip(SKIP_3) | instid1(VALU_DEP_3)
	v_pk_fma_f32 v[26:27], v[38:39], s[12:13], v[26:27] op_sel_hi:[1,0,1]
	v_pk_fma_f32 v[38:39], v[28:29], v[36:37], 1.0 op_sel_hi:[0,1,0] neg_lo:[1,0,0] neg_hi:[1,0,0]
	v_cndmask_b32_e64 v37, 0, 1.0, s1
	v_cndmask_b32_e64 v36, 0, 1.0, s3
	;; [unrolled: 1-line block ×3, first 2 shown]
	s_delay_alu instid0(VALU_DEP_4) | instskip(NEXT) | instid1(VALU_DEP_3)
	v_cndmask_b32_e64 v38, v38, 1.0, vcc_lo
	v_pk_mul_f32 v[36:37], s[16:17], v[36:37] op_sel_hi:[0,1]
	s_delay_alu instid0(VALU_DEP_1) | instskip(SKIP_2) | instid1(VALU_DEP_2)
	v_pk_fma_f32 v[110:111], v[38:39], v[36:37], v[26:27]
	v_pk_add_f32 v[26:27], v[52:53], v[24:25] neg_lo:[0,1] neg_hi:[0,1]
	v_pk_add_f32 v[24:25], v[60:61], v[24:25] neg_lo:[0,1] neg_hi:[0,1]
	v_pk_mul_f32 v[26:27], v[26:27], v[26:27]
	s_delay_alu instid0(VALU_DEP_2) | instskip(NEXT) | instid1(VALU_DEP_2)
	v_pk_mul_f32 v[24:25], v[24:25], v[24:25]
	v_fma_f32 v9, v9, v9, v26
	s_delay_alu instid0(VALU_DEP_1) | instskip(NEXT) | instid1(VALU_DEP_1)
	v_add_f32_e32 v9, v9, v27
	v_cmp_gt_f32_e32 vcc_lo, 0xf800000, v9
	v_mul_f32_e32 v11, 0x4f800000, v9
	s_delay_alu instid0(VALU_DEP_1) | instskip(NEXT) | instid1(VALU_DEP_1)
	v_cndmask_b32_e32 v9, v9, v11, vcc_lo
	v_sqrt_f32_e32 v11, v9
	v_nop
	s_delay_alu instid0(TRANS32_DEP_1) | instskip(NEXT) | instid1(VALU_DEP_1)
	v_add_nc_u32_e32 v26, -1, v11
	v_fma_f32 v27, -v26, v11, v9
	s_delay_alu instid0(VALU_DEP_1) | instskip(NEXT) | instid1(VALU_DEP_1)
	v_cmp_ge_f32_e64 s0, 0, v27
	v_dual_add_nc_u32 v27, 1, v11 :: v_dual_cndmask_b32 v26, v11, v26, s0
	s_delay_alu instid0(VALU_DEP_1) | instskip(NEXT) | instid1(VALU_DEP_1)
	v_fma_f32 v11, -v27, v11, v9
	v_cmp_lt_f32_e64 s0, 0, v11
	s_delay_alu instid0(VALU_DEP_1) | instskip(NEXT) | instid1(VALU_DEP_1)
	v_cndmask_b32_e64 v11, v26, v27, s0
	v_mul_f32_e32 v26, 0x37800000, v11
	s_delay_alu instid0(VALU_DEP_1) | instskip(SKIP_1) | instid1(VALU_DEP_2)
	v_cndmask_b32_e32 v11, v11, v26, vcc_lo
	v_cmp_class_f32_e64 vcc_lo, v9, 0x260
	v_dual_cndmask_b32 v26, v11, v9 :: v_dual_sub_f32 v9, v13, v115
	s_delay_alu instid0(VALU_DEP_1) | instskip(NEXT) | instid1(VALU_DEP_1)
	v_fma_f32 v9, v9, v9, v24
	v_add_f32_e32 v9, v9, v25
	s_delay_alu instid0(VALU_DEP_1) | instskip(SKIP_1) | instid1(VALU_DEP_1)
	v_cmp_gt_f32_e32 vcc_lo, 0xf800000, v9
	v_mul_f32_e32 v11, 0x4f800000, v9
	v_cndmask_b32_e32 v9, v9, v11, vcc_lo
	s_delay_alu instid0(VALU_DEP_1) | instskip(SKIP_1) | instid1(TRANS32_DEP_1)
	v_sqrt_f32_e32 v11, v9
	v_nop
	v_add_nc_u32_e32 v24, -1, v11
	s_delay_alu instid0(VALU_DEP_1) | instskip(NEXT) | instid1(VALU_DEP_1)
	v_fma_f32 v25, -v24, v11, v9
	v_cmp_ge_f32_e64 s0, 0, v25
	s_delay_alu instid0(VALU_DEP_1) | instskip(NEXT) | instid1(VALU_DEP_1)
	v_dual_add_nc_u32 v25, 1, v11 :: v_dual_cndmask_b32 v24, v11, v24, s0
	v_fma_f32 v11, -v25, v11, v9
	s_delay_alu instid0(VALU_DEP_1) | instskip(NEXT) | instid1(VALU_DEP_1)
	v_cmp_lt_f32_e64 s0, 0, v11
	v_cndmask_b32_e64 v11, v24, v25, s0
	s_delay_alu instid0(VALU_DEP_1) | instskip(NEXT) | instid1(VALU_DEP_1)
	v_mul_f32_e32 v24, 0x37800000, v11
	v_cndmask_b32_e32 v11, v11, v24, vcc_lo
	v_cmp_class_f32_e64 vcc_lo, v9, 0x260
	s_delay_alu instid0(VALU_DEP_2) | instskip(NEXT) | instid1(VALU_DEP_1)
	v_cndmask_b32_e32 v27, v11, v9, vcc_lo
	v_pk_add_f32 v[10:11], v[26:27], v[10:11] op_sel_hi:[1,0] neg_lo:[0,1] neg_hi:[0,1]
	v_pk_fma_f32 v[8:9], v[8:9], v[26:27], 1.0 op_sel_hi:[0,1,0] neg_lo:[1,0,0] neg_hi:[1,0,0]
	s_delay_alu instid0(VALU_DEP_2) | instskip(NEXT) | instid1(VALU_DEP_3)
	v_cmp_gt_f32_e32 vcc_lo, 0, v10
	v_cmp_gt_f32_e64 s0, 0, v11
	v_cmp_gt_f32_e64 s1, s34, v10
	;; [unrolled: 1-line block ×3, first 2 shown]
	v_cndmask_b32_e64 v24, 0, 0x42980000, vcc_lo
	s_delay_alu instid0(VALU_DEP_4) | instskip(NEXT) | instid1(VALU_DEP_4)
	v_cndmask_b32_e64 v25, 0, 0x42980000, s0
	v_cndmask_b32_e64 v26, 0, 1.0, s1
	s_delay_alu instid0(VALU_DEP_4)
	v_cndmask_b32_e64 v27, 0, 1.0, s3
	v_cmp_gt_f32_e64 s1, s31, v11
	v_cmp_gt_f32_e64 s3, s31, v10
	v_pk_fma_f32 v[8:9], v[8:9], v[24:25], v[112:113]
	v_pk_fma_f32 v[24:25], s[18:19], v[10:11], 1.0 op_sel_hi:[0,1,0] neg_lo:[1,0,0] neg_hi:[1,0,0]
	s_and_b32 s1, s30, s1
	s_and_b32 s3, s30, s3
	s_cmp_lg_u32 s25, 0
	s_delay_alu instid0(VALU_DEP_1) | instskip(SKIP_1) | instid1(VALU_DEP_1)
	v_cndmask_b32_e64 v25, v25, 1.0, s0
	v_cndmask_b32_e64 v24, v24, 1.0, vcc_lo
	v_pk_mul_f32 v[24:25], v[26:27], v[24:25]
	s_delay_alu instid0(VALU_DEP_1) | instskip(NEXT) | instid1(VALU_DEP_1)
	v_pk_mul_f32 v[24:25], v[30:31], v[24:25] op_sel_hi:[0,1]
	v_cndmask_b32_e64 v25, v25, -|v25|, s33
	s_delay_alu instid0(VALU_DEP_2) | instskip(NEXT) | instid1(VALU_DEP_1)
	v_cndmask_b32_e64 v24, v24, -|v24|, s33
	v_pk_fma_f32 v[8:9], v[24:25], s[12:13], v[8:9] op_sel_hi:[1,0,1]
	v_pk_fma_f32 v[24:25], v[28:29], v[10:11], 1.0 op_sel_hi:[0,1,0] neg_lo:[1,0,0] neg_hi:[1,0,0]
	v_cndmask_b32_e64 v11, 0, 1.0, s1
	v_cndmask_b32_e64 v10, 0, 1.0, s3
	s_delay_alu instid0(VALU_DEP_3) | instskip(NEXT) | instid1(VALU_DEP_4)
	v_cndmask_b32_e64 v25, v25, 1.0, s0
	v_cndmask_b32_e64 v24, v24, 1.0, vcc_lo
	s_delay_alu instid0(VALU_DEP_3) | instskip(NEXT) | instid1(VALU_DEP_1)
	v_pk_mul_f32 v[10:11], s[16:17], v[10:11] op_sel_hi:[0,1]
	v_pk_fma_f32 v[112:113], v[24:25], v[10:11], v[8:9]
	s_cbranch_scc1 .LBB5_28
; %bb.29:                               ;   in Loop: Header=BB5_27 Depth=1
	s_add_co_i32 s13, s13, 1
	s_delay_alu instid0(SALU_CYCLE_1)
	s_cmp_lg_u32 s13, s19
	s_cbranch_scc1 .LBB5_27
; %bb.30:
	s_clause 0x7
	scratch_store_b128 off, v[98:101], off
	scratch_store_b128 off, v[92:95], off offset:16
	scratch_store_b128 off, v[86:89], off offset:32
	;; [unrolled: 1-line block ×7, first 2 shown]
	s_wait_xcnt 0x0
	s_and_saveexec_b32 s0, s2
	s_cbranch_execz .LBB5_32
; %bb.31:
	s_clause 0x4
	scratch_load_b128 v[0:3], off, off offset:76
	scratch_load_b128 v[4:7], off, off offset:92
	;; [unrolled: 1-line block ×3, first 2 shown]
	scratch_load_b32 v12, off, off offset:124
	scratch_load_b32 v58, off, off offset:3876 th:TH_LOAD_LU
	v_dual_mul_f32 v37, 0.5, v100 :: v_dual_mul_f32 v38, 0.5, v101
	v_dual_mul_f32 v39, 0.5, v92 :: v_dual_mul_f32 v40, 0.5, v93
	;; [unrolled: 1-line block ×7, first 2 shown]
	v_mul_f32_e32 v34, 0.5, v98
	v_dual_mul_f32 v42, 0.5, v94 :: v_dual_mul_f32 v52, 0.5, v72
	s_wait_loadcnt 0x4
	v_dual_mul_f32 v2, 0.5, v2 :: v_dual_mul_f32 v3, 0.5, v3
	s_wait_loadcnt 0x3
	v_dual_mul_f32 v4, 0.5, v4 :: v_dual_mul_f32 v5, 0.5, v5
	s_wait_loadcnt 0x0
	v_add_nc_u32_e32 v13, s26, v58
	v_dual_mul_f32 v6, 0.5, v6 :: v_dual_mul_f32 v7, 0.5, v7
	v_dual_mul_f32 v8, 0.5, v8 :: v_dual_mul_f32 v9, 0.5, v9
	s_delay_alu instid0(VALU_DEP_3) | instskip(SKIP_1) | instid1(VALU_DEP_2)
	v_dual_add_nc_u32 v14, s26, v13 :: v_dual_mul_f32 v10, 0.5, v10
	v_dual_mul_f32 v11, 0.5, v11 :: v_dual_mul_f32 v12, 0.5, v12
	v_dual_mul_f32 v0, 0.5, v0 :: v_dual_add_nc_u32 v15, s26, v14
	s_delay_alu instid0(VALU_DEP_1) | instskip(NEXT) | instid1(VALU_DEP_1)
	v_dual_mul_f32 v1, 0.5, v1 :: v_dual_add_nc_u32 v16, s26, v15
	v_add_nc_u32_e32 v17, s26, v16
	s_delay_alu instid0(VALU_DEP_1) | instskip(NEXT) | instid1(VALU_DEP_1)
	v_add_nc_u32_e32 v18, s26, v17
	v_add_nc_u32_e32 v19, s26, v18
	s_delay_alu instid0(VALU_DEP_1) | instskip(NEXT) | instid1(VALU_DEP_1)
	v_add_nc_u32_e32 v20, s26, v19
	;; [unrolled: 3-line block ×8, first 2 shown]
	v_dual_add_nc_u32 v33, s26, v32 :: v_dual_mul_f32 v35, 0.5, v99
	s_delay_alu instid0(VALU_DEP_1)
	v_add_nc_u32_e32 v36, s26, v33
	s_clause 0x6
	global_store_b32 v58, v34, s[4:5] scale_offset
	global_store_b32 v13, v35, s[4:5] scale_offset
	;; [unrolled: 1-line block ×7, first 2 shown]
	v_dual_add_nc_u32 v41, s26, v36 :: v_dual_mul_f32 v45, 0.5, v87
	s_delay_alu instid0(VALU_DEP_1)
	v_add_nc_u32_e32 v46, s26, v41
	s_clause 0xb
	global_store_b32 v19, v43, s[4:5] scale_offset
	global_store_b32 v20, v44, s[4:5] scale_offset
	global_store_b32 v21, v45, s[4:5] scale_offset
	global_store_b32 v22, v47, s[4:5] scale_offset
	global_store_b32 v23, v48, s[4:5] scale_offset
	global_store_b32 v24, v49, s[4:5] scale_offset
	global_store_b32 v25, v50, s[4:5] scale_offset
	global_store_b32 v26, v52, s[4:5] scale_offset
	global_store_b32 v27, v53, s[4:5] scale_offset
	global_store_b32 v28, v54, s[4:5] scale_offset
	global_store_b32 v29, v55, s[4:5] scale_offset
	global_store_b32 v30, v57, s[4:5] scale_offset
	v_add_nc_u32_e32 v51, s26, v46
	s_delay_alu instid0(VALU_DEP_1) | instskip(SKIP_1) | instid1(VALU_DEP_1)
	v_add_nc_u32_e32 v56, s26, v51
	s_wait_xcnt 0x11
	v_add_nc_u32_e32 v13, s26, v56
	s_wait_xcnt 0x10
	s_delay_alu instid0(VALU_DEP_1) | instskip(SKIP_1) | instid1(VALU_DEP_1)
	v_add_nc_u32_e32 v14, s26, v13
	s_wait_xcnt 0xf
	v_add_nc_u32_e32 v15, s26, v14
	s_wait_xcnt 0xe
	s_delay_alu instid0(VALU_DEP_1) | instskip(SKIP_1) | instid1(VALU_DEP_1)
	v_add_nc_u32_e32 v16, s26, v15
	s_wait_xcnt 0xd
	v_add_nc_u32_e32 v17, s26, v16
	s_clause 0xc
	global_store_b32 v31, v0, s[4:5] scale_offset
	global_store_b32 v32, v1, s[4:5] scale_offset
	;; [unrolled: 1-line block ×13, first 2 shown]
.LBB5_32:
	s_sendmsg sendmsg(MSG_DEALLOC_VGPRS)
	s_endpgm
	.section	.rodata,"a",@progbits
	.p2align	6, 0x0
	.amdhsa_kernel _ZL11fasten_mainILm32EEviiPK4AtomS2_PKfS4_S4_S4_S4_S4_PfPK8FFParamsi
		.amdhsa_group_segment_fixed_size 0
		.amdhsa_private_segment_fixed_size 3888
		.amdhsa_kernarg_size 352
		.amdhsa_user_sgpr_count 2
		.amdhsa_user_sgpr_dispatch_ptr 0
		.amdhsa_user_sgpr_queue_ptr 0
		.amdhsa_user_sgpr_kernarg_segment_ptr 1
		.amdhsa_user_sgpr_dispatch_id 0
		.amdhsa_user_sgpr_kernarg_preload_length 0
		.amdhsa_user_sgpr_kernarg_preload_offset 0
		.amdhsa_user_sgpr_private_segment_size 0
		.amdhsa_wavefront_size32 1
		.amdhsa_uses_dynamic_stack 0
		.amdhsa_enable_private_segment 1
		.amdhsa_system_sgpr_workgroup_id_x 1
		.amdhsa_system_sgpr_workgroup_id_y 0
		.amdhsa_system_sgpr_workgroup_id_z 0
		.amdhsa_system_sgpr_workgroup_info 0
		.amdhsa_system_vgpr_workitem_id 0
		.amdhsa_next_free_vgpr 128
		.amdhsa_next_free_sgpr 35
		.amdhsa_named_barrier_count 0
		.amdhsa_reserve_vcc 1
		.amdhsa_float_round_mode_32 0
		.amdhsa_float_round_mode_16_64 0
		.amdhsa_float_denorm_mode_32 3
		.amdhsa_float_denorm_mode_16_64 3
		.amdhsa_fp16_overflow 0
		.amdhsa_memory_ordered 1
		.amdhsa_forward_progress 1
		.amdhsa_inst_pref_size 216
		.amdhsa_round_robin_scheduling 0
		.amdhsa_exception_fp_ieee_invalid_op 0
		.amdhsa_exception_fp_denorm_src 0
		.amdhsa_exception_fp_ieee_div_zero 0
		.amdhsa_exception_fp_ieee_overflow 0
		.amdhsa_exception_fp_ieee_underflow 0
		.amdhsa_exception_fp_ieee_inexact 0
		.amdhsa_exception_int_div_zero 0
	.end_amdhsa_kernel
	.section	.text._ZL11fasten_mainILm32EEviiPK4AtomS2_PKfS4_S4_S4_S4_S4_PfPK8FFParamsi,"axG",@progbits,_ZL11fasten_mainILm32EEviiPK4AtomS2_PKfS4_S4_S4_S4_S4_PfPK8FFParamsi,comdat
.Lfunc_end5:
	.size	_ZL11fasten_mainILm32EEviiPK4AtomS2_PKfS4_S4_S4_S4_S4_PfPK8FFParamsi, .Lfunc_end5-_ZL11fasten_mainILm32EEviiPK4AtomS2_PKfS4_S4_S4_S4_S4_PfPK8FFParamsi
                                        ; -- End function
	.set _ZL11fasten_mainILm32EEviiPK4AtomS2_PKfS4_S4_S4_S4_S4_PfPK8FFParamsi.num_vgpr, 128
	.set _ZL11fasten_mainILm32EEviiPK4AtomS2_PKfS4_S4_S4_S4_S4_PfPK8FFParamsi.num_agpr, 0
	.set _ZL11fasten_mainILm32EEviiPK4AtomS2_PKfS4_S4_S4_S4_S4_PfPK8FFParamsi.numbered_sgpr, 35
	.set _ZL11fasten_mainILm32EEviiPK4AtomS2_PKfS4_S4_S4_S4_S4_PfPK8FFParamsi.num_named_barrier, 0
	.set _ZL11fasten_mainILm32EEviiPK4AtomS2_PKfS4_S4_S4_S4_S4_PfPK8FFParamsi.private_seg_size, 3888
	.set _ZL11fasten_mainILm32EEviiPK4AtomS2_PKfS4_S4_S4_S4_S4_PfPK8FFParamsi.uses_vcc, 1
	.set _ZL11fasten_mainILm32EEviiPK4AtomS2_PKfS4_S4_S4_S4_S4_PfPK8FFParamsi.uses_flat_scratch, 1
	.set _ZL11fasten_mainILm32EEviiPK4AtomS2_PKfS4_S4_S4_S4_S4_PfPK8FFParamsi.has_dyn_sized_stack, 0
	.set _ZL11fasten_mainILm32EEviiPK4AtomS2_PKfS4_S4_S4_S4_S4_PfPK8FFParamsi.has_recursion, 0
	.set _ZL11fasten_mainILm32EEviiPK4AtomS2_PKfS4_S4_S4_S4_S4_PfPK8FFParamsi.has_indirect_call, 0
	.section	.AMDGPU.csdata,"",@progbits
; Kernel info:
; codeLenInByte = 27568
; TotalNumSgprs: 37
; NumVgprs: 128
; ScratchSize: 3888
; MemoryBound: 0
; FloatMode: 240
; IeeeMode: 1
; LDSByteSize: 0 bytes/workgroup (compile time only)
; SGPRBlocks: 0
; VGPRBlocks: 7
; NumSGPRsForWavesPerEU: 37
; NumVGPRsForWavesPerEU: 128
; NamedBarCnt: 0
; Occupancy: 8
; WaveLimiterHint : 1
; COMPUTE_PGM_RSRC2:SCRATCH_EN: 1
; COMPUTE_PGM_RSRC2:USER_SGPR: 2
; COMPUTE_PGM_RSRC2:TRAP_HANDLER: 0
; COMPUTE_PGM_RSRC2:TGID_X_EN: 1
; COMPUTE_PGM_RSRC2:TGID_Y_EN: 0
; COMPUTE_PGM_RSRC2:TGID_Z_EN: 0
; COMPUTE_PGM_RSRC2:TIDIG_COMP_CNT: 0
	.section	.text._ZL11fasten_mainILm64EEviiPK4AtomS2_PKfS4_S4_S4_S4_S4_PfPK8FFParamsi,"axG",@progbits,_ZL11fasten_mainILm64EEviiPK4AtomS2_PKfS4_S4_S4_S4_S4_PfPK8FFParamsi,comdat
	.globl	_ZL11fasten_mainILm64EEviiPK4AtomS2_PKfS4_S4_S4_S4_S4_PfPK8FFParamsi ; -- Begin function _ZL11fasten_mainILm64EEviiPK4AtomS2_PKfS4_S4_S4_S4_S4_PfPK8FFParamsi
	.p2align	8
	.type	_ZL11fasten_mainILm64EEviiPK4AtomS2_PKfS4_S4_S4_S4_S4_PfPK8FFParamsi,@function
_ZL11fasten_mainILm64EEviiPK4AtomS2_PKfS4_S4_S4_S4_S4_PfPK8FFParamsi: ; @_ZL11fasten_mainILm64EEviiPK4AtomS2_PKfS4_S4_S4_S4_S4_PfPK8FFParamsi
; %bb.0:
	s_clause 0x1
	s_load_b32 s2, s[0:1], 0x6c
	s_load_b32 s3, s[0:1], 0x58
	s_bfe_u32 s4, ttmp6, 0x4000c
	s_and_b32 s5, ttmp6, 15
	s_add_co_i32 s4, s4, 1
	s_getreg_b32 s6, hwreg(HW_REG_IB_STS2, 6, 4)
	s_mul_i32 s4, ttmp9, s4
	s_load_b512 s[8:23], s[0:1], 0x8
	s_add_co_i32 s5, s5, s4
	s_mov_b32 s7, 0
	s_mov_b64 s[24:25], 0xfe5163ab
	s_mov_b32 s27, 0x7fffff
	s_mov_b32 s28, 0xb94c1982
	s_mov_b32 s29, 0x37d75334
	s_mov_b32 s30, s7
	v_mov_b32_e32 v15, 0
	s_wait_kmcnt 0x0
	s_and_b32 s26, s2, 0xffff
	s_cmp_eq_u32 s6, 0
	s_cselect_b32 s2, ttmp9, s5
	s_sub_co_i32 s4, s3, 64
	s_mul_i32 s2, s2, s26
	s_mov_b32 s5, 0
	v_lshl_add_u32 v0, s2, 6, v0
	s_lshl_b32 s6, s26, 2
	s_delay_alu instid0(VALU_DEP_1) | instskip(SKIP_3) | instid1(VALU_DEP_1)
	v_cmp_gt_i32_e64 s2, s3, v0
	scratch_store_b32 off, v0, off offset:6032 ; 4-byte Folded Spill
	s_wait_xcnt 0x0
	v_cndmask_b32_e64 v0, s4, v0, s2
	v_ashrrev_i32_e32 v1, 31, v0
	s_delay_alu instid0(VALU_DEP_1)
	v_lshlrev_b64_e32 v[12:13], 2, v[0:1]
	s_branch .LBB6_2
.LBB6_1:                                ;   in Loop: Header=BB6_2 Depth=1
	s_or_b32 exec_lo, exec_lo, s3
	v_add_nc_u64_e32 v[26:27], s[18:19], v[12:13]
	v_add_nc_u64_e32 v[28:29], s[20:21], v[12:13]
	;; [unrolled: 1-line block ×3, first 2 shown]
	v_dual_mul_f32 v32, v2, v2 :: v_dual_bitop2_b32 v33, 1, v4 bitop3:0x40
	v_dual_lshlrev_b32 v4, 30, v4 :: v_dual_mul_f32 v34, v23, v23
	global_load_b32 v11, v[26:27], off
	global_load_b32 v7, v[28:29], off
	;; [unrolled: 1-line block ×3, first 2 shown]
	v_dual_mul_f32 v14, v21, v21 :: v_dual_bitop2_b32 v25, 1, v22 bitop3:0x40
	s_wait_xcnt 0x0
	v_dual_mul_f32 v30, v5, v5 :: v_dual_bitop2_b32 v31, 1, v8 bitop3:0x40
	v_fmaak_f32 v46, s28, v34, 0x3c0881c4
	s_delay_alu instid0(VALU_DEP_3) | instskip(SKIP_1) | instid1(VALU_DEP_4)
	v_fmaak_f32 v36, s28, v14, 0x3c0881c4
	v_dual_lshlrev_b32 v22, 30, v22 :: v_dual_mul_f32 v26, v17, v17
	v_fmaak_f32 v42, s28, v30, 0x3c0881c4
	s_delay_alu instid0(VALU_DEP_4) | instskip(SKIP_2) | instid1(VALU_DEP_4)
	v_fmaak_f32 v46, v34, v46, 0xbe2aaa9d
	v_fmaak_f32 v45, s29, v32, 0xbab64f3b
	v_dual_mul_f32 v28, v10, v10 :: v_dual_bitop2_b32 v27, 1, v19 bitop3:0x40
	v_fmaak_f32 v42, v30, v42, 0xbe2aaa9d
	s_delay_alu instid0(VALU_DEP_4) | instskip(SKIP_2) | instid1(VALU_DEP_4)
	v_mul_f32_e32 v46, v34, v46
	v_fmaak_f32 v36, v14, v36, 0xbe2aaa9d
	v_fmaak_f32 v45, v32, v45, 0x3d2aabf7
	v_dual_fmaak_f32 v41, s29, v28, 0xbab64f3b :: v_dual_mul_f32 v42, v30, v42
	s_delay_alu instid0(VALU_DEP_4) | instskip(NEXT) | instid1(VALU_DEP_4)
	v_fmac_f32_e32 v23, v23, v46
	v_dual_fmaak_f32 v37, s29, v14, 0xbab64f3b :: v_dual_mul_f32 v36, v14, v36
	v_fmaak_f32 v38, s28, v26, 0x3c0881c4
	s_delay_alu instid0(VALU_DEP_4) | instskip(SKIP_1) | instid1(VALU_DEP_3)
	v_dual_fmaak_f32 v44, s28, v32, 0x3c0881c4 :: v_dual_fmac_f32 v5, v5, v42
	v_fmaak_f32 v45, v32, v45, 0xbf000004
	v_dual_fmac_f32 v21, v21, v36 :: v_dual_fmaak_f32 v38, v26, v38, 0xbe2aaa9d
	v_xor_b32_e32 v1, v1, v0
	s_delay_alu instid0(VALU_DEP_4)
	v_fmaak_f32 v44, v32, v44, 0xbe2aaa9d
	v_fmaak_f32 v43, s29, v30, 0xbab64f3b
	v_cmp_eq_u32_e32 vcc_lo, 0, v25
	v_mul_f32_e32 v38, v26, v38
	v_fmaak_f32 v40, s28, v28, 0x3c0881c4
	v_mul_f32_e32 v44, v32, v44
	v_fmaak_f32 v41, v28, v41, 0x3d2aabf7
	v_fma_f32 v32, v32, v45, 1.0
	s_delay_alu instid0(VALU_DEP_4) | instskip(NEXT) | instid1(VALU_DEP_4)
	v_dual_fmac_f32 v17, v17, v38 :: v_dual_fmaak_f32 v40, v28, v40, 0xbe2aaa9d
	v_dual_fmaak_f32 v39, s29, v26, 0xbab64f3b :: v_dual_fmac_f32 v2, v2, v44
	s_delay_alu instid0(VALU_DEP_4) | instskip(SKIP_1) | instid1(VALU_DEP_4)
	v_fmaak_f32 v41, v28, v41, 0xbf000004
	v_dual_lshlrev_b32 v16, 30, v16 :: v_dual_bitop2_b32 v29, 1, v16 bitop3:0x40
	v_dual_mul_f32 v40, v28, v40 :: v_dual_fmaak_f32 v47, s29, v34, 0xbab64f3b
	s_delay_alu instid0(VALU_DEP_3) | instskip(SKIP_2) | instid1(VALU_DEP_4)
	v_fma_f32 v28, v28, v41, 1.0
	v_fmaak_f32 v39, v26, v39, 0x3d2aabf7
	v_fmaak_f32 v43, v30, v43, 0x3d2aabf7
	v_fmac_f32_e32 v10, v10, v40
	v_fmaak_f32 v37, v14, v37, 0x3d2aabf7
	v_fmaak_f32 v47, v34, v47, 0x3d2aabf7
	;; [unrolled: 1-line block ×4, first 2 shown]
	v_dual_lshlrev_b32 v24, 30, v24 :: v_dual_bitop2_b32 v35, 1, v24 bitop3:0x40
	v_fmaak_f32 v37, v14, v37, 0xbf000004
	s_delay_alu instid0(VALU_DEP_4) | instskip(NEXT) | instid1(VALU_DEP_4)
	v_fma_f32 v26, v26, v39, 1.0
	v_fma_f32 v30, v30, v43, 1.0
	v_fmaak_f32 v47, v34, v47, 0xbf000004
	v_dual_lshlrev_b32 v19, 30, v19 :: v_dual_bitop2_b32 v20, v20, v18 bitop3:0x14
	v_fma_f32 v14, v14, v37, 1.0
	v_dual_lshlrev_b32 v8, 30, v8 :: v_dual_bitop2_b32 v9, v9, v6 bitop3:0x14
	s_delay_alu instid0(VALU_DEP_4) | instskip(SKIP_1) | instid1(VALU_DEP_4)
	v_fma_f32 v34, v34, v47, 1.0
	v_and_b32_e32 v4, 0x80000000, v4
	v_cndmask_b32_e32 v14, v14, v21, vcc_lo
	v_cmp_eq_u32_e32 vcc_lo, 0, v27
	v_and_b32_e32 v22, 0x80000000, v22
	v_and_b32_e32 v16, 0x80000000, v16
	v_cmp_class_f32_e64 s3, v0, 0x1f8
	v_cmp_class_f32_e64 s4, v6, 0x1f8
	v_cndmask_b32_e64 v17, -v17, v26, vcc_lo
	v_cmp_eq_u32_e32 vcc_lo, 0, v29
	v_xor3_b32 v14, v20, v22, v14
	v_add_nc_u64_e32 v[12:13], s[6:7], v[12:13]
	s_add_co_i32 s31, s30, 0x100
	v_bitop3_b32 v17, v19, v17, 0x80000000 bitop3:0x6c
	v_cndmask_b32_e32 v10, v28, v10, vcc_lo
	v_cmp_eq_u32_e32 vcc_lo, 0, v31
	s_add_co_i32 s30, s30, 48
	scratch_store_b32 off, v15, s5
	v_cndmask_b32_e64 v6, 0x7fc00000, v17, s4
	v_xor3_b32 v9, v9, v16, v10
	v_cndmask_b32_e64 v5, -v5, v30, vcc_lo
	v_cmp_eq_u32_e32 vcc_lo, 0, v33
	s_wait_xcnt 0x0
	s_add_co_i32 s5, s5, 4
	s_cmp_lg_u32 s30, 0xc00
	v_bitop3_b32 v5, v8, v5, 0x80000000 bitop3:0x6c
	v_cndmask_b32_e32 v2, v32, v2, vcc_lo
	v_cmp_eq_u32_e32 vcc_lo, 0, v35
	s_delay_alu instid0(VALU_DEP_3) | instskip(NEXT) | instid1(VALU_DEP_3)
	v_cndmask_b32_e64 v17, 0x7fc00000, v5, s3
	v_xor3_b32 v1, v1, v4, v2
	v_cndmask_b32_e64 v21, -v23, v34, vcc_lo
	v_cmp_class_f32_e64 vcc_lo, v18, 0x1f8
	s_delay_alu instid0(VALU_DEP_4) | instskip(NEXT) | instid1(VALU_DEP_4)
	v_mov_b32_e32 v18, v17
	v_cndmask_b32_e64 v16, 0x7fc00000, v1, s3
	s_delay_alu instid0(VALU_DEP_4) | instskip(NEXT) | instid1(VALU_DEP_2)
	v_bitop3_b32 v0, v24, v21, 0x80000000 bitop3:0x6c
	v_dual_cndmask_b32 v2, 0x7fc00000, v14 :: v_dual_mov_b32 v19, v16
	s_delay_alu instid0(VALU_DEP_2) | instskip(SKIP_1) | instid1(VALU_DEP_3)
	v_cndmask_b32_e32 v10, 0x7fc00000, v0, vcc_lo
	v_cndmask_b32_e64 v0, 0x7fc00000, v9, s4
	v_mul_f32_e32 v4, v6, v2
	s_delay_alu instid0(VALU_DEP_3) | instskip(NEXT) | instid1(VALU_DEP_3)
	v_mul_f32_e32 v8, v6, v10
	v_pk_mul_f32 v[20:21], v[16:17], v[0:1] op_sel_hi:[1,0]
	v_xor_b32_e32 v0, 0x80000000, v0
	s_wait_loadcnt 0x2
	v_pk_mul_f32 v[18:19], v[18:19], v[10:11] op_sel_hi:[1,0]
	s_delay_alu instid0(VALU_DEP_3) | instskip(SKIP_4) | instid1(VALU_DEP_3)
	v_pk_mul_f32 v[24:25], v[20:21], v[10:11] op_sel_hi:[1,0]
	s_wait_loadcnt 0x0
	v_pk_mul_f32 v[22:23], v[16:17], v[2:3] op_sel_hi:[1,0]
	v_pk_mul_f32 v[28:29], v[20:21], v[2:3] op_sel_hi:[1,0]
	;; [unrolled: 1-line block ×3, first 2 shown]
	v_pk_fma_f32 v[26:27], v[20:21], v[10:11], v[22:23] op_sel:[0,0,1] op_sel_hi:[1,0,0]
	v_pk_fma_f32 v[20:21], v[20:21], v[2:3], v[18:19] op_sel_hi:[1,0,1] neg_lo:[0,0,1] neg_hi:[0,0,1]
	v_sub_f32_e32 v9, v24, v23
	v_add_f32_e32 v5, v28, v18
	s_delay_alu instid0(VALU_DEP_4) | instskip(NEXT) | instid1(VALU_DEP_4)
	v_dual_mov_b32 v1, v16 :: v_dual_mov_b32 v10, v27
	v_dual_mov_b32 v6, v21 :: v_dual_mov_b32 v2, v17
	s_clause 0x2
	scratch_store_b128 off, v[8:11], s31
	scratch_store_b128 off, v[4:7], s31 offset:16
	scratch_store_b128 off, v[0:3], s31 offset:32
	s_cbranch_scc0 .LBB6_26
.LBB6_2:                                ; =>This Inner Loop Header: Depth=1
	s_wait_xcnt 0x0
	s_delay_alu instid0(VALU_DEP_1)
	v_add_nc_u64_e32 v[0:1], s[12:13], v[12:13]
                                        ; implicit-def: $vgpr4
	global_load_b32 v0, v[0:1], off
	s_wait_loadcnt 0x0
	s_wait_xcnt 0x0
	v_and_b32_e32 v1, 0x7fffffff, v0
	v_cmp_ngt_f32_e64 s31, 0x48000000, |v0|
	s_delay_alu instid0(VALU_DEP_2) | instskip(SKIP_1) | instid1(VALU_DEP_2)
	v_lshrrev_b32_e32 v2, 23, v1
	v_and_or_b32 v14, v1, s27, 0x800000
	v_add_nc_u32_e32 v3, 0xffffff88, v2
                                        ; implicit-def: $vgpr2
	s_and_saveexec_b32 s3, s31
	s_delay_alu instid0(SALU_CYCLE_1)
	s_xor_b32 s33, exec_lo, s3
	s_cbranch_execz .LBB6_4
; %bb.3:                                ;   in Loop: Header=BB6_2 Depth=1
	v_mul_u64_e32 v[4:5], s[24:25], v[14:15]
	v_mov_b32_e32 v7, v15
	v_cmp_lt_u32_e32 vcc_lo, 63, v3
	v_mov_b32_e32 v21, v15
	v_cndmask_b32_e64 v2, 0, 0xffffffc0, vcc_lo
	s_delay_alu instid0(VALU_DEP_1) | instskip(NEXT) | instid1(VALU_DEP_1)
	v_add_nc_u32_e32 v2, v2, v3
	v_cmp_lt_u32_e64 s3, 31, v2
	v_mov_b32_e32 v6, v5
	s_delay_alu instid0(VALU_DEP_2) | instskip(NEXT) | instid1(VALU_DEP_2)
	v_cndmask_b32_e64 v5, 0, 0xffffffe0, s3
	v_mad_nc_u64_u32 v[6:7], 0x3c439041, v14, v[6:7]
	s_delay_alu instid0(VALU_DEP_2) | instskip(NEXT) | instid1(VALU_DEP_1)
	v_dual_mov_b32 v9, v15 :: v_dual_add_nc_u32 v2, v5, v2
	v_cmp_lt_u32_e64 s4, 31, v2
	s_delay_alu instid0(VALU_DEP_3) | instskip(NEXT) | instid1(VALU_DEP_2)
	v_mov_b32_e32 v8, v7
	v_cndmask_b32_e64 v5, 0, 0xffffffe0, s4
	s_delay_alu instid0(VALU_DEP_2) | instskip(NEXT) | instid1(VALU_DEP_1)
	v_mad_nc_u64_u32 v[8:9], 0xdb629599, v14, v[8:9]
	v_dual_mov_b32 v11, v15 :: v_dual_mov_b32 v10, v9
	s_delay_alu instid0(VALU_DEP_2) | instskip(NEXT) | instid1(VALU_DEP_2)
	v_cndmask_b32_e32 v4, v8, v4, vcc_lo
	v_mad_nc_u64_u32 v[10:11], 0xf534ddc0, v14, v[10:11]
	s_delay_alu instid0(VALU_DEP_1) | instskip(NEXT) | instid1(VALU_DEP_1)
	v_dual_mov_b32 v17, v15 :: v_dual_mov_b32 v16, v11
	v_mad_nc_u64_u32 v[16:17], 0xfc2757d1, v14, v[16:17]
	s_delay_alu instid0(VALU_DEP_1) | instskip(NEXT) | instid1(VALU_DEP_1)
	v_dual_mov_b32 v19, v15 :: v_dual_mov_b32 v18, v17
	v_mad_nc_u64_u32 v[18:19], 0x4e441529, v14, v[18:19]
	s_delay_alu instid0(VALU_DEP_1) | instskip(NEXT) | instid1(VALU_DEP_1)
	v_mov_b32_e32 v20, v19
	v_mad_nc_u64_u32 v[20:21], 0xa2f9836e, v14, v[20:21]
	s_delay_alu instid0(VALU_DEP_1) | instskip(NEXT) | instid1(VALU_DEP_2)
	v_dual_cndmask_b32 v7, v18, v10, vcc_lo :: v_dual_cndmask_b32 v9, v20, v16, vcc_lo
	v_dual_cndmask_b32 v11, v21, v18 :: v_dual_cndmask_b32 v16, v16, v8
	v_add_nc_u32_e32 v2, v5, v2
	s_delay_alu instid0(VALU_DEP_3) | instskip(NEXT) | instid1(VALU_DEP_3)
	v_dual_cndmask_b32 v5, v10, v6, vcc_lo :: v_dual_cndmask_b32 v6, v9, v7, s3
	v_cndmask_b32_e64 v9, v11, v9, s3
	s_delay_alu instid0(VALU_DEP_3) | instskip(NEXT) | instid1(VALU_DEP_3)
	v_dual_cndmask_b32 v7, v7, v16, s3 :: v_dual_sub_nc_u32 v10, 32, v2
	v_cndmask_b32_e64 v11, v16, v5, s3
	v_cmp_eq_u32_e32 vcc_lo, 0, v2
	s_delay_alu instid0(VALU_DEP_3) | instskip(NEXT) | instid1(VALU_DEP_1)
	v_dual_cndmask_b32 v9, v9, v6, s4 :: v_dual_cndmask_b32 v6, v6, v7, s4
	v_alignbit_b32 v16, v9, v6, v10
	s_delay_alu instid0(VALU_DEP_1) | instskip(NEXT) | instid1(VALU_DEP_1)
	v_dual_cndmask_b32 v7, v7, v11, s4 :: v_dual_cndmask_b32 v2, v16, v9, vcc_lo
	v_alignbit_b32 v8, v6, v7, v10
	s_delay_alu instid0(VALU_DEP_1) | instskip(NEXT) | instid1(VALU_DEP_3)
	v_dual_cndmask_b32 v4, v5, v4, s3 :: v_dual_cndmask_b32 v5, v8, v6, vcc_lo
	v_bfe_u32 v6, v2, 29, 1
	s_delay_alu instid0(VALU_DEP_2) | instskip(NEXT) | instid1(VALU_DEP_3)
	v_cndmask_b32_e64 v4, v11, v4, s4
	v_alignbit_b32 v8, v2, v5, 30
	s_delay_alu instid0(VALU_DEP_3) | instskip(NEXT) | instid1(VALU_DEP_3)
	v_sub_nc_u32_e32 v9, 0, v6
	v_alignbit_b32 v10, v7, v4, v10
	s_delay_alu instid0(VALU_DEP_1) | instskip(NEXT) | instid1(VALU_DEP_1)
	v_dual_cndmask_b32 v7, v10, v7, vcc_lo :: v_dual_bitop2_b32 v8, v8, v9 bitop3:0x14
	v_clz_i32_u32_e32 v10, v8
	s_delay_alu instid0(VALU_DEP_2) | instskip(SKIP_1) | instid1(VALU_DEP_3)
	v_alignbit_b32 v5, v5, v7, 30
	v_alignbit_b32 v4, v7, v4, 30
	v_min_u32_e32 v10, 32, v10
	s_delay_alu instid0(VALU_DEP_3) | instskip(NEXT) | instid1(VALU_DEP_3)
	v_xor_b32_e32 v5, v5, v9
	v_dual_lshrrev_b32 v9, 29, v2 :: v_dual_bitop2_b32 v4, v4, v9 bitop3:0x14
	s_delay_alu instid0(VALU_DEP_3) | instskip(NEXT) | instid1(VALU_DEP_1)
	v_dual_sub_nc_u32 v7, 31, v10 :: v_dual_lshlrev_b32 v11, 23, v10
	v_alignbit_b32 v8, v8, v5, v7
	s_delay_alu instid0(VALU_DEP_3) | instskip(NEXT) | instid1(VALU_DEP_4)
	v_alignbit_b32 v4, v5, v4, v7
	v_lshlrev_b32_e32 v5, 31, v9
	s_delay_alu instid0(VALU_DEP_2) | instskip(NEXT) | instid1(VALU_DEP_2)
	v_alignbit_b32 v7, v8, v4, 9
	v_dual_lshrrev_b32 v8, 9, v8 :: v_dual_bitop2_b32 v9, 0.5, v5 bitop3:0x54
	v_or_b32_e32 v5, 0x33000000, v5
	s_delay_alu instid0(VALU_DEP_3) | instskip(NEXT) | instid1(VALU_DEP_3)
	v_clz_i32_u32_e32 v16, v7
	v_sub_nc_u32_e32 v9, v9, v11
	s_delay_alu instid0(VALU_DEP_2) | instskip(NEXT) | instid1(VALU_DEP_1)
	v_min_u32_e32 v11, 32, v16
	v_add_lshl_u32 v10, v11, v10, 23
	s_delay_alu instid0(VALU_DEP_3) | instskip(SKIP_1) | instid1(VALU_DEP_2)
	v_or_b32_e32 v8, v8, v9
	v_not_b32_e32 v9, v11
	v_dual_mul_f32 v16, 0x3fc90fda, v8 :: v_dual_sub_nc_u32 v5, v5, v10
	s_delay_alu instid0(VALU_DEP_2) | instskip(NEXT) | instid1(VALU_DEP_2)
	v_alignbit_b32 v4, v7, v4, v9
	v_fma_f32 v7, 0x3fc90fda, v8, -v16
	s_delay_alu instid0(VALU_DEP_2) | instskip(NEXT) | instid1(VALU_DEP_2)
	v_lshrrev_b32_e32 v4, 9, v4
	v_fmac_f32_e32 v7, 0x33a22168, v8
	s_delay_alu instid0(VALU_DEP_2) | instskip(NEXT) | instid1(VALU_DEP_1)
	v_or_b32_e32 v4, v5, v4
	v_dual_fmac_f32 v7, 0x3fc90fda, v4 :: v_dual_lshrrev_b32 v4, 30, v2
	s_delay_alu instid0(VALU_DEP_1)
	v_dual_add_nc_u32 v4, v6, v4 :: v_dual_add_f32 v2, v16, v7
.LBB6_4:                                ;   in Loop: Header=BB6_2 Depth=1
	s_or_saveexec_b32 s3, s33
	v_mul_f32_e64 v5, 0x3f22f983, |v0|
	s_delay_alu instid0(VALU_DEP_1)
	v_rndne_f32_e32 v6, v5
	s_xor_b32 exec_lo, exec_lo, s3
; %bb.5:                                ;   in Loop: Header=BB6_2 Depth=1
	s_delay_alu instid0(VALU_DEP_1) | instskip(SKIP_1) | instid1(VALU_DEP_2)
	v_fma_f32 v2, 0xbfc90fda, v6, |v0|
	v_cvt_i32_f32_e32 v4, v6
	v_fmac_f32_e32 v2, 0xb3a22168, v6
	s_delay_alu instid0(VALU_DEP_1)
	v_fmac_f32_e32 v2, 0xa7c234c4, v6
; %bb.6:                                ;   in Loop: Header=BB6_2 Depth=1
	s_or_b32 exec_lo, exec_lo, s3
                                        ; implicit-def: $vgpr8
                                        ; implicit-def: $vgpr5
	s_and_saveexec_b32 s3, s31
	s_delay_alu instid0(SALU_CYCLE_1)
	s_xor_b32 s31, exec_lo, s3
	s_cbranch_execz .LBB6_8
; %bb.7:                                ;   in Loop: Header=BB6_2 Depth=1
	v_mul_u64_e32 v[6:7], s[24:25], v[14:15]
	v_mov_b32_e32 v9, v15
	v_cmp_lt_u32_e32 vcc_lo, 63, v3
	v_mov_b32_e32 v23, v15
	v_cndmask_b32_e64 v5, 0, 0xffffffc0, vcc_lo
	s_delay_alu instid0(VALU_DEP_1) | instskip(NEXT) | instid1(VALU_DEP_1)
	v_add_nc_u32_e32 v3, v5, v3
	v_cmp_lt_u32_e64 s3, 31, v3
	s_delay_alu instid0(VALU_DEP_1) | instskip(SKIP_1) | instid1(VALU_DEP_1)
	v_cndmask_b32_e64 v5, 0, 0xffffffe0, s3
	v_mov_b32_e32 v8, v7
	v_mad_nc_u64_u32 v[8:9], 0x3c439041, v14, v[8:9]
	s_delay_alu instid0(VALU_DEP_1) | instskip(NEXT) | instid1(VALU_DEP_1)
	v_dual_mov_b32 v11, v15 :: v_dual_mov_b32 v10, v9
	v_mad_nc_u64_u32 v[10:11], 0xdb629599, v14, v[10:11]
	s_delay_alu instid0(VALU_DEP_1) | instskip(NEXT) | instid1(VALU_DEP_1)
	v_dual_mov_b32 v17, v15 :: v_dual_mov_b32 v16, v11
	;; [unrolled: 3-line block ×4, first 2 shown]
	v_mad_nc_u64_u32 v[20:21], 0x4e441529, v14, v[20:21]
	s_delay_alu instid0(VALU_DEP_1) | instskip(NEXT) | instid1(VALU_DEP_1)
	v_dual_mov_b32 v22, v21 :: v_dual_cndmask_b32 v7, v20, v16
	v_mad_nc_u64_u32 v[22:23], 0xa2f9836e, v14, v[22:23]
	v_dual_cndmask_b32 v14, v18, v10 :: v_dual_add_nc_u32 v3, v5, v3
	s_delay_alu instid0(VALU_DEP_2) | instskip(NEXT) | instid1(VALU_DEP_2)
	v_dual_cndmask_b32 v11, v23, v20, vcc_lo :: v_dual_cndmask_b32 v9, v22, v18, vcc_lo
	v_cmp_lt_u32_e64 s4, 31, v3
	s_delay_alu instid0(VALU_DEP_1) | instskip(NEXT) | instid1(VALU_DEP_1)
	v_cndmask_b32_e64 v5, 0, 0xffffffe0, s4
	v_dual_add_nc_u32 v3, v5, v3 :: v_dual_cndmask_b32 v5, v16, v8, vcc_lo
	s_delay_alu instid0(VALU_DEP_4) | instskip(NEXT) | instid1(VALU_DEP_2)
	v_dual_cndmask_b32 v8, v9, v7, s3 :: v_dual_cndmask_b32 v9, v11, v9, s3
	v_dual_cndmask_b32 v7, v7, v14, s3 :: v_dual_sub_nc_u32 v11, 32, v3
	s_delay_alu instid0(VALU_DEP_2) | instskip(NEXT) | instid1(VALU_DEP_1)
	v_dual_cndmask_b32 v14, v14, v5, s3 :: v_dual_cndmask_b32 v9, v9, v8, s4
	v_dual_cndmask_b32 v8, v8, v7, s4 :: v_dual_cndmask_b32 v7, v7, v14, s4
	s_delay_alu instid0(VALU_DEP_1) | instskip(SKIP_2) | instid1(VALU_DEP_4)
	v_alignbit_b32 v16, v9, v8, v11
	v_cndmask_b32_e32 v6, v10, v6, vcc_lo
	v_cmp_eq_u32_e32 vcc_lo, 0, v3
	v_alignbit_b32 v10, v8, v7, v11
	s_delay_alu instid0(VALU_DEP_3) | instskip(NEXT) | instid1(VALU_DEP_2)
	v_dual_cndmask_b32 v3, v16, v9, vcc_lo :: v_dual_cndmask_b32 v5, v5, v6, s3
	v_cndmask_b32_e32 v6, v10, v8, vcc_lo
	s_delay_alu instid0(VALU_DEP_2) | instskip(NEXT) | instid1(VALU_DEP_3)
	v_bfe_u32 v8, v3, 29, 1
	v_cndmask_b32_e64 v5, v14, v5, s4
	s_delay_alu instid0(VALU_DEP_3) | instskip(NEXT) | instid1(VALU_DEP_3)
	v_alignbit_b32 v9, v3, v6, 30
	v_sub_nc_u32_e32 v10, 0, v8
	s_delay_alu instid0(VALU_DEP_3) | instskip(NEXT) | instid1(VALU_DEP_1)
	v_alignbit_b32 v11, v7, v5, v11
	v_dual_cndmask_b32 v7, v11, v7, vcc_lo :: v_dual_bitop2_b32 v9, v9, v10 bitop3:0x14
	s_delay_alu instid0(VALU_DEP_1) | instskip(NEXT) | instid1(VALU_DEP_2)
	v_clz_i32_u32_e32 v11, v9
	v_alignbit_b32 v6, v6, v7, 30
	v_alignbit_b32 v5, v7, v5, 30
	s_delay_alu instid0(VALU_DEP_3) | instskip(NEXT) | instid1(VALU_DEP_3)
	v_min_u32_e32 v11, 32, v11
	v_xor_b32_e32 v6, v6, v10
	s_delay_alu instid0(VALU_DEP_3) | instskip(SKIP_1) | instid1(VALU_DEP_4)
	v_dual_lshrrev_b32 v10, 29, v3 :: v_dual_bitop2_b32 v5, v5, v10 bitop3:0x14
	v_lshrrev_b32_e32 v3, 30, v3
	v_dual_sub_nc_u32 v7, 31, v11 :: v_dual_lshlrev_b32 v14, 23, v11
	s_delay_alu instid0(VALU_DEP_2) | instskip(NEXT) | instid1(VALU_DEP_2)
	v_add_nc_u32_e32 v8, v8, v3
	v_alignbit_b32 v9, v9, v6, v7
	v_alignbit_b32 v5, v6, v5, v7
	v_lshlrev_b32_e32 v6, 31, v10
	s_delay_alu instid0(VALU_DEP_2) | instskip(NEXT) | instid1(VALU_DEP_2)
	v_alignbit_b32 v7, v9, v5, 9
	v_dual_lshrrev_b32 v9, 9, v9 :: v_dual_bitop2_b32 v10, 0.5, v6 bitop3:0x54
	v_or_b32_e32 v6, 0x33000000, v6
	s_delay_alu instid0(VALU_DEP_3) | instskip(NEXT) | instid1(VALU_DEP_3)
	v_clz_i32_u32_e32 v16, v7
	v_sub_nc_u32_e32 v10, v10, v14
	s_delay_alu instid0(VALU_DEP_2) | instskip(NEXT) | instid1(VALU_DEP_1)
	v_min_u32_e32 v14, 32, v16
	v_add_lshl_u32 v11, v14, v11, 23
	s_delay_alu instid0(VALU_DEP_3) | instskip(SKIP_1) | instid1(VALU_DEP_3)
	v_or_b32_e32 v9, v9, v10
	v_not_b32_e32 v10, v14
	v_sub_nc_u32_e32 v6, v6, v11
	s_delay_alu instid0(VALU_DEP_3) | instskip(NEXT) | instid1(VALU_DEP_3)
	v_mul_f32_e32 v16, 0x3fc90fda, v9
	v_alignbit_b32 v5, v7, v5, v10
	s_delay_alu instid0(VALU_DEP_2) | instskip(NEXT) | instid1(VALU_DEP_2)
	v_fma_f32 v7, 0x3fc90fda, v9, -v16
	v_lshrrev_b32_e32 v5, 9, v5
	s_delay_alu instid0(VALU_DEP_2) | instskip(NEXT) | instid1(VALU_DEP_2)
	v_fmac_f32_e32 v7, 0x33a22168, v9
	v_or_b32_e32 v5, v6, v5
                                        ; implicit-def: $vgpr6
	s_delay_alu instid0(VALU_DEP_1) | instskip(NEXT) | instid1(VALU_DEP_1)
	v_fmac_f32_e32 v7, 0x3fc90fda, v5
	v_add_f32_e32 v5, v16, v7
	s_and_not1_saveexec_b32 s3, s31
	s_cbranch_execnz .LBB6_9
	s_branch .LBB6_10
.LBB6_8:                                ;   in Loop: Header=BB6_2 Depth=1
	s_and_not1_saveexec_b32 s3, s31
.LBB6_9:                                ;   in Loop: Header=BB6_2 Depth=1
	v_fma_f32 v5, 0xbfc90fda, v6, |v0|
	v_cvt_i32_f32_e32 v8, v6
	s_delay_alu instid0(VALU_DEP_2) | instskip(NEXT) | instid1(VALU_DEP_1)
	v_fmac_f32_e32 v5, 0xb3a22168, v6
	v_fmac_f32_e32 v5, 0xa7c234c4, v6
.LBB6_10:                               ;   in Loop: Header=BB6_2 Depth=1
	s_or_b32 exec_lo, exec_lo, s3
	v_add_nc_u64_e32 v[6:7], s[14:15], v[12:13]
                                        ; implicit-def: $vgpr16
                                        ; implicit-def: $vgpr10
	global_load_b32 v6, v[6:7], off
	s_wait_loadcnt 0x0
	v_and_b32_e32 v9, 0x7fffffff, v6
	v_cmp_ngt_f32_e64 s31, 0x48000000, |v6|
	s_delay_alu instid0(VALU_DEP_2) | instskip(SKIP_1) | instid1(VALU_DEP_2)
	v_lshrrev_b32_e32 v3, 23, v9
	v_and_or_b32 v14, v9, s27, 0x800000
	v_add_nc_u32_e32 v3, 0xffffff88, v3
	s_wait_xcnt 0x0
	s_and_saveexec_b32 s3, s31
	s_delay_alu instid0(SALU_CYCLE_1)
	s_xor_b32 s33, exec_lo, s3
	s_cbranch_execz .LBB6_12
; %bb.11:                               ;   in Loop: Header=BB6_2 Depth=1
	v_mul_u64_e32 v[10:11], s[24:25], v[14:15]
	v_mov_b32_e32 v17, v15
	v_cmp_lt_u32_e32 vcc_lo, 63, v3
	v_cndmask_b32_e64 v7, 0, 0xffffffc0, vcc_lo
	s_delay_alu instid0(VALU_DEP_4) | instskip(NEXT) | instid1(VALU_DEP_1)
	v_mov_b32_e32 v16, v11
	v_mad_nc_u64_u32 v[16:17], 0x3c439041, v14, v[16:17]
	s_delay_alu instid0(VALU_DEP_1) | instskip(NEXT) | instid1(VALU_DEP_1)
	v_dual_mov_b32 v19, v15 :: v_dual_mov_b32 v18, v17
	v_mad_nc_u64_u32 v[18:19], 0xdb629599, v14, v[18:19]
	s_delay_alu instid0(VALU_DEP_1) | instskip(NEXT) | instid1(VALU_DEP_2)
	v_dual_mov_b32 v21, v15 :: v_dual_mov_b32 v20, v19
	v_cndmask_b32_e32 v10, v18, v10, vcc_lo
	s_delay_alu instid0(VALU_DEP_2) | instskip(NEXT) | instid1(VALU_DEP_1)
	v_mad_nc_u64_u32 v[20:21], 0xf534ddc0, v14, v[20:21]
	v_dual_mov_b32 v23, v15 :: v_dual_mov_b32 v22, v21
	s_delay_alu instid0(VALU_DEP_1) | instskip(NEXT) | instid1(VALU_DEP_1)
	v_mad_nc_u64_u32 v[22:23], 0xfc2757d1, v14, v[22:23]
	v_dual_mov_b32 v25, v15 :: v_dual_mov_b32 v24, v23
	s_delay_alu instid0(VALU_DEP_1) | instskip(SKIP_1) | instid1(VALU_DEP_2)
	v_mad_nc_u64_u32 v[24:25], 0x4e441529, v14, v[24:25]
	v_add_nc_u32_e32 v7, v7, v3
	v_dual_mov_b32 v27, v15 :: v_dual_cndmask_b32 v17, v24, v20, vcc_lo
	s_delay_alu instid0(VALU_DEP_3) | instskip(NEXT) | instid1(VALU_DEP_3)
	v_mov_b32_e32 v26, v25
	v_cmp_lt_u32_e64 s3, 31, v7
	s_delay_alu instid0(VALU_DEP_2) | instskip(NEXT) | instid1(VALU_DEP_2)
	v_mad_nc_u64_u32 v[26:27], 0xa2f9836e, v14, v[26:27]
	v_cndmask_b32_e64 v11, 0, 0xffffffe0, s3
	s_delay_alu instid0(VALU_DEP_1) | instskip(NEXT) | instid1(VALU_DEP_1)
	v_dual_add_nc_u32 v7, v11, v7 :: v_dual_cndmask_b32 v19, v26, v22, vcc_lo
	v_cmp_lt_u32_e64 s4, 31, v7
	s_delay_alu instid0(VALU_DEP_4) | instskip(NEXT) | instid1(VALU_DEP_2)
	v_dual_cndmask_b32 v21, v27, v24 :: v_dual_cndmask_b32 v22, v22, v18
	v_cndmask_b32_e64 v11, 0, 0xffffffe0, s4
	s_delay_alu instid0(VALU_DEP_1) | instskip(NEXT) | instid1(VALU_DEP_3)
	v_dual_add_nc_u32 v7, v11, v7 :: v_dual_cndmask_b32 v11, v20, v16, vcc_lo
	v_dual_cndmask_b32 v16, v19, v17, s3 :: v_dual_cndmask_b32 v19, v21, v19, s3
	s_delay_alu instid0(VALU_DEP_2) | instskip(NEXT) | instid1(VALU_DEP_3)
	v_dual_cndmask_b32 v17, v17, v22, s3 :: v_dual_sub_nc_u32 v20, 32, v7
	v_cndmask_b32_e64 v21, v22, v11, s3
	v_cmp_eq_u32_e32 vcc_lo, 0, v7
	s_delay_alu instid0(VALU_DEP_3) | instskip(NEXT) | instid1(VALU_DEP_1)
	v_dual_cndmask_b32 v19, v19, v16, s4 :: v_dual_cndmask_b32 v16, v16, v17, s4
	v_alignbit_b32 v22, v19, v16, v20
	s_delay_alu instid0(VALU_DEP_1) | instskip(NEXT) | instid1(VALU_DEP_1)
	v_dual_cndmask_b32 v17, v17, v21, s4 :: v_dual_cndmask_b32 v7, v22, v19, vcc_lo
	v_alignbit_b32 v18, v16, v17, v20
	s_delay_alu instid0(VALU_DEP_1) | instskip(NEXT) | instid1(VALU_DEP_3)
	v_dual_cndmask_b32 v10, v11, v10, s3 :: v_dual_cndmask_b32 v11, v18, v16, vcc_lo
	v_bfe_u32 v16, v7, 29, 1
	s_delay_alu instid0(VALU_DEP_2) | instskip(NEXT) | instid1(VALU_DEP_3)
	v_cndmask_b32_e64 v10, v21, v10, s4
	v_alignbit_b32 v18, v7, v11, 30
	s_delay_alu instid0(VALU_DEP_3) | instskip(NEXT) | instid1(VALU_DEP_3)
	v_sub_nc_u32_e32 v19, 0, v16
	v_alignbit_b32 v20, v17, v10, v20
	s_delay_alu instid0(VALU_DEP_1) | instskip(NEXT) | instid1(VALU_DEP_1)
	v_dual_cndmask_b32 v17, v20, v17, vcc_lo :: v_dual_bitop2_b32 v18, v18, v19 bitop3:0x14
	v_clz_i32_u32_e32 v20, v18
	s_delay_alu instid0(VALU_DEP_2) | instskip(SKIP_1) | instid1(VALU_DEP_3)
	v_alignbit_b32 v11, v11, v17, 30
	v_alignbit_b32 v10, v17, v10, 30
	v_min_u32_e32 v20, 32, v20
	s_delay_alu instid0(VALU_DEP_3) | instskip(NEXT) | instid1(VALU_DEP_3)
	v_xor_b32_e32 v11, v11, v19
	v_xor_b32_e32 v10, v10, v19
	v_dual_lshrrev_b32 v19, 29, v7 :: v_dual_lshrrev_b32 v7, 30, v7
	s_delay_alu instid0(VALU_DEP_4) | instskip(NEXT) | instid1(VALU_DEP_2)
	v_dual_sub_nc_u32 v17, 31, v20 :: v_dual_lshlrev_b32 v21, 23, v20
	v_add_nc_u32_e32 v16, v16, v7
	s_delay_alu instid0(VALU_DEP_2) | instskip(SKIP_2) | instid1(VALU_DEP_2)
	v_alignbit_b32 v18, v18, v11, v17
	v_alignbit_b32 v10, v11, v10, v17
	v_lshlrev_b32_e32 v11, 31, v19
	v_alignbit_b32 v17, v18, v10, 9
	s_delay_alu instid0(VALU_DEP_2) | instskip(SKIP_1) | instid1(VALU_DEP_3)
	v_dual_lshrrev_b32 v18, 9, v18 :: v_dual_bitop2_b32 v19, 0.5, v11 bitop3:0x54
	v_or_b32_e32 v11, 0x33000000, v11
	v_clz_i32_u32_e32 v22, v17
	s_delay_alu instid0(VALU_DEP_3) | instskip(NEXT) | instid1(VALU_DEP_2)
	v_sub_nc_u32_e32 v19, v19, v21
	v_min_u32_e32 v21, 32, v22
	s_delay_alu instid0(VALU_DEP_1) | instskip(NEXT) | instid1(VALU_DEP_3)
	v_add_lshl_u32 v20, v21, v20, 23
	v_or_b32_e32 v18, v18, v19
	v_not_b32_e32 v19, v21
	s_delay_alu instid0(VALU_DEP_2) | instskip(NEXT) | instid1(VALU_DEP_2)
	v_dual_mul_f32 v22, 0x3fc90fda, v18 :: v_dual_sub_nc_u32 v11, v11, v20
	v_alignbit_b32 v10, v17, v10, v19
	s_delay_alu instid0(VALU_DEP_2) | instskip(NEXT) | instid1(VALU_DEP_2)
	v_fma_f32 v17, 0x3fc90fda, v18, -v22
	v_lshrrev_b32_e32 v10, 9, v10
	s_delay_alu instid0(VALU_DEP_2) | instskip(NEXT) | instid1(VALU_DEP_2)
	v_fmac_f32_e32 v17, 0x33a22168, v18
	v_or_b32_e32 v10, v11, v10
	s_delay_alu instid0(VALU_DEP_1) | instskip(NEXT) | instid1(VALU_DEP_1)
	v_fmac_f32_e32 v17, 0x3fc90fda, v10
	v_add_f32_e32 v10, v22, v17
.LBB6_12:                               ;   in Loop: Header=BB6_2 Depth=1
	s_or_saveexec_b32 s3, s33
	v_mul_f32_e64 v7, 0x3f22f983, |v6|
	s_delay_alu instid0(VALU_DEP_1)
	v_rndne_f32_e32 v7, v7
	s_xor_b32 exec_lo, exec_lo, s3
; %bb.13:                               ;   in Loop: Header=BB6_2 Depth=1
	s_delay_alu instid0(VALU_DEP_1) | instskip(SKIP_1) | instid1(VALU_DEP_2)
	v_fma_f32 v10, 0xbfc90fda, v7, |v6|
	v_cvt_i32_f32_e32 v16, v7
	v_fmac_f32_e32 v10, 0xb3a22168, v7
	s_delay_alu instid0(VALU_DEP_1)
	v_fmac_f32_e32 v10, 0xa7c234c4, v7
; %bb.14:                               ;   in Loop: Header=BB6_2 Depth=1
	s_or_b32 exec_lo, exec_lo, s3
                                        ; implicit-def: $vgpr19
                                        ; implicit-def: $vgpr17
	s_and_saveexec_b32 s3, s31
	s_delay_alu instid0(SALU_CYCLE_1)
	s_xor_b32 s31, exec_lo, s3
	s_cbranch_execz .LBB6_16
; %bb.15:                               ;   in Loop: Header=BB6_2 Depth=1
	v_mul_u64_e32 v[18:19], s[24:25], v[14:15]
	v_mov_b32_e32 v21, v15
	v_cmp_lt_u32_e32 vcc_lo, 63, v3
	v_cndmask_b32_e64 v7, 0, 0xffffffc0, vcc_lo
	s_delay_alu instid0(VALU_DEP_4) | instskip(NEXT) | instid1(VALU_DEP_1)
	v_mov_b32_e32 v20, v19
	v_mad_nc_u64_u32 v[20:21], 0x3c439041, v14, v[20:21]
	s_delay_alu instid0(VALU_DEP_1) | instskip(NEXT) | instid1(VALU_DEP_1)
	v_dual_mov_b32 v23, v15 :: v_dual_mov_b32 v22, v21
	v_mad_nc_u64_u32 v[22:23], 0xdb629599, v14, v[22:23]
	s_delay_alu instid0(VALU_DEP_1) | instskip(NEXT) | instid1(VALU_DEP_2)
	v_dual_mov_b32 v25, v15 :: v_dual_mov_b32 v24, v23
	v_cndmask_b32_e32 v18, v22, v18, vcc_lo
	s_delay_alu instid0(VALU_DEP_2) | instskip(NEXT) | instid1(VALU_DEP_1)
	v_mad_nc_u64_u32 v[24:25], 0xf534ddc0, v14, v[24:25]
	v_dual_mov_b32 v27, v15 :: v_dual_mov_b32 v26, v25
	s_delay_alu instid0(VALU_DEP_1) | instskip(NEXT) | instid1(VALU_DEP_1)
	v_mad_nc_u64_u32 v[26:27], 0xfc2757d1, v14, v[26:27]
	v_dual_mov_b32 v29, v15 :: v_dual_mov_b32 v28, v27
	s_delay_alu instid0(VALU_DEP_2) | instskip(NEXT) | instid1(VALU_DEP_2)
	v_cndmask_b32_e32 v19, v26, v22, vcc_lo
	v_mad_nc_u64_u32 v[28:29], 0x4e441529, v14, v[28:29]
	v_add_nc_u32_e32 v3, v7, v3
	s_delay_alu instid0(VALU_DEP_2) | instskip(NEXT) | instid1(VALU_DEP_3)
	v_dual_mov_b32 v31, v15 :: v_dual_cndmask_b32 v11, v28, v24, vcc_lo
	v_mov_b32_e32 v30, v29
	s_delay_alu instid0(VALU_DEP_3) | instskip(NEXT) | instid1(VALU_DEP_2)
	v_cmp_lt_u32_e64 s3, 31, v3
	v_mad_nc_u64_u32 v[30:31], 0xa2f9836e, v14, v[30:31]
	s_delay_alu instid0(VALU_DEP_2) | instskip(NEXT) | instid1(VALU_DEP_1)
	v_cndmask_b32_e64 v7, 0, 0xffffffe0, s3
	v_dual_cndmask_b32 v14, v30, v26 :: v_dual_add_nc_u32 v3, v7, v3
	s_delay_alu instid0(VALU_DEP_1) | instskip(NEXT) | instid1(VALU_DEP_4)
	v_cmp_lt_u32_e64 s4, 31, v3
	v_cndmask_b32_e32 v17, v31, v28, vcc_lo
	s_delay_alu instid0(VALU_DEP_2) | instskip(NEXT) | instid1(VALU_DEP_1)
	v_cndmask_b32_e64 v7, 0, 0xffffffe0, s4
	v_dual_add_nc_u32 v3, v7, v3 :: v_dual_cndmask_b32 v7, v24, v20, vcc_lo
	s_delay_alu instid0(VALU_DEP_3) | instskip(SKIP_1) | instid1(VALU_DEP_3)
	v_dual_cndmask_b32 v20, v14, v11, s3 :: v_dual_cndmask_b32 v14, v17, v14, s3
	v_cndmask_b32_e64 v11, v11, v19, s3
	v_sub_nc_u32_e32 v17, 32, v3
	v_cmp_eq_u32_e32 vcc_lo, 0, v3
	s_delay_alu instid0(VALU_DEP_3) | instskip(NEXT) | instid1(VALU_DEP_1)
	v_dual_cndmask_b32 v14, v14, v20, s4 :: v_dual_cndmask_b32 v20, v20, v11, s4
	v_alignbit_b32 v21, v14, v20, v17
	v_cndmask_b32_e64 v19, v19, v7, s3
	v_cndmask_b32_e64 v7, v7, v18, s3
	s_delay_alu instid0(VALU_DEP_2) | instskip(NEXT) | instid1(VALU_DEP_1)
	v_dual_cndmask_b32 v3, v21, v14, vcc_lo :: v_dual_cndmask_b32 v11, v11, v19, s4
	v_bfe_u32 v18, v3, 29, 1
	s_delay_alu instid0(VALU_DEP_2) | instskip(NEXT) | instid1(VALU_DEP_1)
	v_alignbit_b32 v22, v20, v11, v17
	v_dual_cndmask_b32 v7, v19, v7, s4 :: v_dual_cndmask_b32 v14, v22, v20, vcc_lo
	s_delay_alu instid0(VALU_DEP_3) | instskip(NEXT) | instid1(VALU_DEP_2)
	v_sub_nc_u32_e32 v20, 0, v18
	v_alignbit_b32 v17, v11, v7, v17
	s_delay_alu instid0(VALU_DEP_3) | instskip(NEXT) | instid1(VALU_DEP_1)
	v_alignbit_b32 v19, v3, v14, 30
	v_dual_cndmask_b32 v11, v17, v11, vcc_lo :: v_dual_bitop2_b32 v19, v19, v20 bitop3:0x14
	s_delay_alu instid0(VALU_DEP_1) | instskip(SKIP_1) | instid1(VALU_DEP_3)
	v_alignbit_b32 v14, v14, v11, 30
	v_alignbit_b32 v7, v11, v7, 30
	v_clz_i32_u32_e32 v17, v19
	s_delay_alu instid0(VALU_DEP_2) | instskip(NEXT) | instid1(VALU_DEP_2)
	v_xor_b32_e32 v7, v7, v20
	v_min_u32_e32 v17, 32, v17
	v_dual_lshrrev_b32 v20, 29, v3 :: v_dual_bitop2_b32 v11, v14, v20 bitop3:0x14
	s_delay_alu instid0(VALU_DEP_2) | instskip(SKIP_1) | instid1(VALU_DEP_2)
	v_dual_lshrrev_b32 v3, 30, v3 :: v_dual_sub_nc_u32 v14, 31, v17
	v_lshlrev_b32_e32 v21, 23, v17
	v_alignbit_b32 v19, v19, v11, v14
	v_alignbit_b32 v7, v11, v7, v14
	v_lshlrev_b32_e32 v11, 31, v20
	s_delay_alu instid0(VALU_DEP_2) | instskip(NEXT) | instid1(VALU_DEP_2)
	v_alignbit_b32 v14, v19, v7, 9
	v_or_b32_e32 v20, 0.5, v11
	v_lshrrev_b32_e32 v19, 9, v19
	v_or_b32_e32 v11, 0x33000000, v11
	s_delay_alu instid0(VALU_DEP_4) | instskip(NEXT) | instid1(VALU_DEP_4)
	v_clz_i32_u32_e32 v22, v14
	v_sub_nc_u32_e32 v20, v20, v21
	s_delay_alu instid0(VALU_DEP_2) | instskip(NEXT) | instid1(VALU_DEP_2)
	v_min_u32_e32 v21, 32, v22
	v_or_b32_e32 v19, v19, v20
	s_delay_alu instid0(VALU_DEP_2) | instskip(SKIP_1) | instid1(VALU_DEP_2)
	v_not_b32_e32 v20, v21
	v_add_lshl_u32 v17, v21, v17, 23
	v_alignbit_b32 v7, v14, v7, v20
	s_delay_alu instid0(VALU_DEP_1) | instskip(SKIP_1) | instid1(VALU_DEP_2)
	v_dual_sub_nc_u32 v11, v11, v17 :: v_dual_lshrrev_b32 v7, 9, v7
	v_mul_f32_e32 v22, 0x3fc90fda, v19
	v_or_b32_e32 v7, v11, v7
	s_delay_alu instid0(VALU_DEP_2) | instskip(NEXT) | instid1(VALU_DEP_1)
	v_fma_f32 v14, 0x3fc90fda, v19, -v22
	v_fmac_f32_e32 v14, 0x33a22168, v19
	v_add_nc_u32_e32 v19, v18, v3
	s_delay_alu instid0(VALU_DEP_2) | instskip(NEXT) | instid1(VALU_DEP_1)
	v_fmac_f32_e32 v14, 0x3fc90fda, v7
                                        ; implicit-def: $vgpr7
	v_add_f32_e32 v17, v22, v14
	s_and_not1_saveexec_b32 s3, s31
	s_cbranch_execnz .LBB6_17
	s_branch .LBB6_18
.LBB6_16:                               ;   in Loop: Header=BB6_2 Depth=1
	s_and_not1_saveexec_b32 s3, s31
.LBB6_17:                               ;   in Loop: Header=BB6_2 Depth=1
	v_fma_f32 v17, 0xbfc90fda, v7, |v6|
	v_cvt_i32_f32_e32 v19, v7
	s_delay_alu instid0(VALU_DEP_2) | instskip(NEXT) | instid1(VALU_DEP_1)
	v_fmac_f32_e32 v17, 0xb3a22168, v7
	v_fmac_f32_e32 v17, 0xa7c234c4, v7
.LBB6_18:                               ;   in Loop: Header=BB6_2 Depth=1
	s_or_b32 exec_lo, exec_lo, s3
	v_add_nc_u64_e32 v[20:21], s[16:17], v[12:13]
                                        ; implicit-def: $vgpr22
	global_load_b32 v18, v[20:21], off
                                        ; implicit-def: $vgpr21
	s_wait_loadcnt 0x0
	v_and_b32_e32 v20, 0x7fffffff, v18
	v_cmp_ngt_f32_e64 s31, 0x48000000, |v18|
	s_delay_alu instid0(VALU_DEP_2) | instskip(SKIP_1) | instid1(VALU_DEP_2)
	v_lshrrev_b32_e32 v3, 23, v20
	v_and_or_b32 v14, v20, s27, 0x800000
	v_add_nc_u32_e32 v3, 0xffffff88, v3
	s_and_saveexec_b32 s3, s31
	s_delay_alu instid0(SALU_CYCLE_1)
	s_xor_b32 s33, exec_lo, s3
	s_cbranch_execz .LBB6_20
; %bb.19:                               ;   in Loop: Header=BB6_2 Depth=1
	v_mul_u64_e32 v[22:23], s[24:25], v[14:15]
	v_mov_b32_e32 v25, v15
	v_cmp_lt_u32_e32 vcc_lo, 63, v3
	v_cndmask_b32_e64 v7, 0, 0xffffffc0, vcc_lo
	s_delay_alu instid0(VALU_DEP_4) | instskip(NEXT) | instid1(VALU_DEP_1)
	v_mov_b32_e32 v24, v23
	v_mad_nc_u64_u32 v[24:25], 0x3c439041, v14, v[24:25]
	s_delay_alu instid0(VALU_DEP_1) | instskip(NEXT) | instid1(VALU_DEP_1)
	v_dual_mov_b32 v27, v15 :: v_dual_mov_b32 v26, v25
	v_mad_nc_u64_u32 v[26:27], 0xdb629599, v14, v[26:27]
	s_delay_alu instid0(VALU_DEP_1) | instskip(NEXT) | instid1(VALU_DEP_2)
	v_dual_mov_b32 v29, v15 :: v_dual_mov_b32 v28, v27
	v_cndmask_b32_e32 v22, v26, v22, vcc_lo
	s_delay_alu instid0(VALU_DEP_2) | instskip(NEXT) | instid1(VALU_DEP_1)
	v_mad_nc_u64_u32 v[28:29], 0xf534ddc0, v14, v[28:29]
	v_dual_mov_b32 v31, v15 :: v_dual_mov_b32 v30, v29
	s_delay_alu instid0(VALU_DEP_1) | instskip(NEXT) | instid1(VALU_DEP_1)
	v_mad_nc_u64_u32 v[30:31], 0xfc2757d1, v14, v[30:31]
	v_dual_mov_b32 v33, v15 :: v_dual_mov_b32 v32, v31
	s_delay_alu instid0(VALU_DEP_2) | instskip(NEXT) | instid1(VALU_DEP_2)
	v_cndmask_b32_e32 v27, v30, v26, vcc_lo
	v_mad_nc_u64_u32 v[32:33], 0x4e441529, v14, v[32:33]
	v_add_nc_u32_e32 v7, v7, v3
	s_delay_alu instid0(VALU_DEP_2) | instskip(NEXT) | instid1(VALU_DEP_3)
	v_dual_mov_b32 v35, v15 :: v_dual_cndmask_b32 v21, v32, v28, vcc_lo
	v_mov_b32_e32 v34, v33
	s_delay_alu instid0(VALU_DEP_3) | instskip(NEXT) | instid1(VALU_DEP_2)
	v_cmp_lt_u32_e64 s3, 31, v7
	v_mad_nc_u64_u32 v[34:35], 0xa2f9836e, v14, v[34:35]
	s_delay_alu instid0(VALU_DEP_2) | instskip(NEXT) | instid1(VALU_DEP_1)
	v_cndmask_b32_e64 v11, 0, 0xffffffe0, s3
	v_dual_add_nc_u32 v7, v11, v7 :: v_dual_cndmask_b32 v23, v34, v30, vcc_lo
	s_delay_alu instid0(VALU_DEP_1) | instskip(NEXT) | instid1(VALU_DEP_4)
	v_cmp_lt_u32_e64 s4, 31, v7
	v_cndmask_b32_e32 v25, v35, v32, vcc_lo
	s_delay_alu instid0(VALU_DEP_2) | instskip(NEXT) | instid1(VALU_DEP_1)
	v_cndmask_b32_e64 v11, 0, 0xffffffe0, s4
	v_dual_add_nc_u32 v7, v11, v7 :: v_dual_cndmask_b32 v11, v28, v24, vcc_lo
	s_delay_alu instid0(VALU_DEP_3) | instskip(SKIP_1) | instid1(VALU_DEP_3)
	v_dual_cndmask_b32 v24, v23, v21, s3 :: v_dual_cndmask_b32 v23, v25, v23, s3
	v_cndmask_b32_e64 v21, v21, v27, s3
	v_sub_nc_u32_e32 v25, 32, v7
	s_delay_alu instid0(VALU_DEP_4) | instskip(SKIP_1) | instid1(VALU_DEP_4)
	v_cndmask_b32_e64 v27, v27, v11, s3
	v_cmp_eq_u32_e32 vcc_lo, 0, v7
	v_dual_cndmask_b32 v23, v23, v24, s4 :: v_dual_cndmask_b32 v24, v24, v21, s4
	s_delay_alu instid0(VALU_DEP_3) | instskip(NEXT) | instid1(VALU_DEP_2)
	v_dual_cndmask_b32 v11, v11, v22, s3 :: v_dual_cndmask_b32 v21, v21, v27, s4
	v_alignbit_b32 v28, v23, v24, v25
	s_delay_alu instid0(VALU_DEP_2) | instskip(NEXT) | instid1(VALU_DEP_1)
	v_alignbit_b32 v26, v24, v21, v25
	v_dual_cndmask_b32 v7, v28, v23 :: v_dual_cndmask_b32 v22, v26, v24
	s_delay_alu instid0(VALU_DEP_1) | instskip(NEXT) | instid1(VALU_DEP_2)
	v_bfe_u32 v23, v7, 29, 1
	v_alignbit_b32 v24, v7, v22, 30
	s_delay_alu instid0(VALU_DEP_2) | instskip(NEXT) | instid1(VALU_DEP_1)
	v_sub_nc_u32_e32 v26, 0, v23
	v_dual_cndmask_b32 v11, v27, v11, s4 :: v_dual_bitop2_b32 v24, v24, v26 bitop3:0x14
	s_delay_alu instid0(VALU_DEP_1) | instskip(NEXT) | instid1(VALU_DEP_1)
	v_alignbit_b32 v25, v21, v11, v25
	v_cndmask_b32_e32 v21, v25, v21, vcc_lo
	s_delay_alu instid0(VALU_DEP_3) | instskip(NEXT) | instid1(VALU_DEP_2)
	v_clz_i32_u32_e32 v25, v24
	v_alignbit_b32 v22, v22, v21, 30
	s_delay_alu instid0(VALU_DEP_2) | instskip(SKIP_1) | instid1(VALU_DEP_2)
	v_min_u32_e32 v25, 32, v25
	v_alignbit_b32 v11, v21, v11, 30
	v_dual_sub_nc_u32 v22, 31, v25 :: v_dual_bitop2_b32 v21, v22, v26 bitop3:0x14
	s_delay_alu instid0(VALU_DEP_2) | instskip(SKIP_1) | instid1(VALU_DEP_3)
	v_dual_lshrrev_b32 v26, 29, v7 :: v_dual_bitop2_b32 v11, v11, v26 bitop3:0x14
	v_dual_lshlrev_b32 v27, 23, v25 :: v_dual_lshrrev_b32 v7, 30, v7
	v_alignbit_b32 v24, v24, v21, v22
	s_delay_alu instid0(VALU_DEP_3) | instskip(NEXT) | instid1(VALU_DEP_4)
	v_alignbit_b32 v11, v21, v11, v22
	v_lshlrev_b32_e32 v21, 31, v26
	s_delay_alu instid0(VALU_DEP_2) | instskip(NEXT) | instid1(VALU_DEP_2)
	v_alignbit_b32 v22, v24, v11, 9
	v_dual_lshrrev_b32 v24, 9, v24 :: v_dual_bitop2_b32 v26, 0.5, v21 bitop3:0x54
	v_or_b32_e32 v21, 0x33000000, v21
	s_delay_alu instid0(VALU_DEP_3) | instskip(NEXT) | instid1(VALU_DEP_3)
	v_clz_i32_u32_e32 v28, v22
	v_sub_nc_u32_e32 v26, v26, v27
	s_delay_alu instid0(VALU_DEP_2) | instskip(NEXT) | instid1(VALU_DEP_1)
	v_min_u32_e32 v27, 32, v28
	v_add_lshl_u32 v25, v27, v25, 23
	s_delay_alu instid0(VALU_DEP_1) | instskip(SKIP_1) | instid1(VALU_DEP_1)
	v_dual_sub_nc_u32 v21, v21, v25 :: v_dual_bitop2_b32 v24, v24, v26 bitop3:0x54
	v_not_b32_e32 v26, v27
	v_alignbit_b32 v11, v22, v11, v26
	s_delay_alu instid0(VALU_DEP_1) | instskip(NEXT) | instid1(VALU_DEP_1)
	v_dual_mul_f32 v28, 0x3fc90fda, v24 :: v_dual_lshrrev_b32 v11, 9, v11
	v_or_b32_e32 v11, v21, v11
	s_delay_alu instid0(VALU_DEP_2) | instskip(NEXT) | instid1(VALU_DEP_1)
	v_fma_f32 v22, 0x3fc90fda, v24, -v28
	v_fmac_f32_e32 v22, 0x33a22168, v24
	s_delay_alu instid0(VALU_DEP_1) | instskip(NEXT) | instid1(VALU_DEP_1)
	v_fmac_f32_e32 v22, 0x3fc90fda, v11
	v_dual_add_f32 v21, v28, v22 :: v_dual_add_nc_u32 v22, v23, v7
.LBB6_20:                               ;   in Loop: Header=BB6_2 Depth=1
	s_or_saveexec_b32 s3, s33
	v_mul_f32_e64 v7, 0x3f22f983, |v18|
	s_delay_alu instid0(VALU_DEP_1)
	v_rndne_f32_e32 v7, v7
	s_xor_b32 exec_lo, exec_lo, s3
; %bb.21:                               ;   in Loop: Header=BB6_2 Depth=1
	s_delay_alu instid0(VALU_DEP_1) | instskip(SKIP_1) | instid1(VALU_DEP_2)
	v_fma_f32 v21, 0xbfc90fda, v7, |v18|
	v_cvt_i32_f32_e32 v22, v7
	v_fmac_f32_e32 v21, 0xb3a22168, v7
	s_delay_alu instid0(VALU_DEP_1)
	v_fmac_f32_e32 v21, 0xa7c234c4, v7
; %bb.22:                               ;   in Loop: Header=BB6_2 Depth=1
	s_or_b32 exec_lo, exec_lo, s3
                                        ; implicit-def: $vgpr24
                                        ; implicit-def: $vgpr23
	s_and_saveexec_b32 s3, s31
	s_delay_alu instid0(SALU_CYCLE_1)
	s_xor_b32 s31, exec_lo, s3
	s_cbranch_execz .LBB6_24
; %bb.23:                               ;   in Loop: Header=BB6_2 Depth=1
	v_mul_u64_e32 v[24:25], s[24:25], v[14:15]
	v_mov_b32_e32 v27, v15
	v_cmp_lt_u32_e32 vcc_lo, 63, v3
	v_cndmask_b32_e64 v7, 0, 0xffffffc0, vcc_lo
	s_delay_alu instid0(VALU_DEP_4) | instskip(NEXT) | instid1(VALU_DEP_1)
	v_mov_b32_e32 v26, v25
	v_mad_nc_u64_u32 v[26:27], 0x3c439041, v14, v[26:27]
	s_delay_alu instid0(VALU_DEP_1) | instskip(NEXT) | instid1(VALU_DEP_1)
	v_dual_mov_b32 v29, v15 :: v_dual_mov_b32 v28, v27
	v_mad_nc_u64_u32 v[28:29], 0xdb629599, v14, v[28:29]
	s_delay_alu instid0(VALU_DEP_1) | instskip(NEXT) | instid1(VALU_DEP_1)
	v_dual_mov_b32 v31, v15 :: v_dual_mov_b32 v30, v29
	;; [unrolled: 3-line block ×3, first 2 shown]
	v_mad_nc_u64_u32 v[32:33], 0xfc2757d1, v14, v[32:33]
	s_delay_alu instid0(VALU_DEP_1) | instskip(NEXT) | instid1(VALU_DEP_2)
	v_dual_mov_b32 v35, v15 :: v_dual_mov_b32 v34, v33
	v_cndmask_b32_e32 v25, v32, v28, vcc_lo
	s_delay_alu instid0(VALU_DEP_2) | instskip(SKIP_1) | instid1(VALU_DEP_2)
	v_mad_nc_u64_u32 v[34:35], 0x4e441529, v14, v[34:35]
	v_add_nc_u32_e32 v3, v7, v3
	v_dual_mov_b32 v37, v15 :: v_dual_mov_b32 v36, v35
	s_delay_alu instid0(VALU_DEP_3) | instskip(NEXT) | instid1(VALU_DEP_3)
	v_cndmask_b32_e32 v11, v34, v30, vcc_lo
	v_cmp_lt_u32_e64 s3, 31, v3
	s_delay_alu instid0(VALU_DEP_3) | instskip(NEXT) | instid1(VALU_DEP_2)
	v_mad_nc_u64_u32 v[36:37], 0xa2f9836e, v14, v[36:37]
	v_cndmask_b32_e64 v7, 0, 0xffffffe0, s3
	s_delay_alu instid0(VALU_DEP_1) | instskip(NEXT) | instid1(VALU_DEP_1)
	v_dual_cndmask_b32 v14, v36, v32 :: v_dual_add_nc_u32 v3, v7, v3
	v_cmp_lt_u32_e64 s4, 31, v3
	s_delay_alu instid0(VALU_DEP_4) | instskip(NEXT) | instid1(VALU_DEP_2)
	v_cndmask_b32_e32 v23, v37, v34, vcc_lo
	v_cndmask_b32_e64 v7, 0, 0xffffffe0, s4
	s_delay_alu instid0(VALU_DEP_1) | instskip(NEXT) | instid1(VALU_DEP_3)
	v_dual_add_nc_u32 v3, v7, v3 :: v_dual_cndmask_b32 v7, v30, v26, vcc_lo
	v_dual_cndmask_b32 v26, v14, v11, s3 :: v_dual_cndmask_b32 v14, v23, v14, s3
	s_delay_alu instid0(VALU_DEP_2) | instskip(NEXT) | instid1(VALU_DEP_2)
	v_dual_cndmask_b32 v11, v11, v25, s3 :: v_dual_sub_nc_u32 v23, 32, v3
	v_dual_cndmask_b32 v25, v25, v7, s3 :: v_dual_cndmask_b32 v14, v14, v26, s4
	s_delay_alu instid0(VALU_DEP_1) | instskip(NEXT) | instid1(VALU_DEP_1)
	v_dual_cndmask_b32 v26, v26, v11, s4 :: v_dual_cndmask_b32 v11, v11, v25, s4
	v_alignbit_b32 v27, v14, v26, v23
	v_cndmask_b32_e32 v24, v28, v24, vcc_lo
	v_cmp_eq_u32_e32 vcc_lo, 0, v3
	s_delay_alu instid0(VALU_DEP_4) | instskip(NEXT) | instid1(VALU_DEP_4)
	v_alignbit_b32 v28, v26, v11, v23
	v_cndmask_b32_e32 v3, v27, v14, vcc_lo
	s_delay_alu instid0(VALU_DEP_2) | instskip(NEXT) | instid1(VALU_DEP_2)
	v_dual_cndmask_b32 v7, v7, v24, s3 :: v_dual_cndmask_b32 v14, v28, v26, vcc_lo
	v_bfe_u32 v24, v3, 29, 1
	s_delay_alu instid0(VALU_DEP_2) | instskip(NEXT) | instid1(VALU_DEP_3)
	v_cndmask_b32_e64 v7, v25, v7, s4
	v_alignbit_b32 v25, v3, v14, 30
	s_delay_alu instid0(VALU_DEP_3) | instskip(NEXT) | instid1(VALU_DEP_3)
	v_sub_nc_u32_e32 v26, 0, v24
	v_alignbit_b32 v23, v11, v7, v23
	s_delay_alu instid0(VALU_DEP_1) | instskip(NEXT) | instid1(VALU_DEP_1)
	v_dual_cndmask_b32 v11, v23, v11, vcc_lo :: v_dual_bitop2_b32 v25, v25, v26 bitop3:0x14
	v_clz_i32_u32_e32 v23, v25
	s_delay_alu instid0(VALU_DEP_2) | instskip(SKIP_1) | instid1(VALU_DEP_3)
	v_alignbit_b32 v14, v14, v11, 30
	v_alignbit_b32 v7, v11, v7, 30
	v_min_u32_e32 v23, 32, v23
	s_delay_alu instid0(VALU_DEP_3) | instskip(NEXT) | instid1(VALU_DEP_3)
	v_xor_b32_e32 v11, v14, v26
	v_dual_lshrrev_b32 v26, 29, v3 :: v_dual_bitop2_b32 v7, v7, v26 bitop3:0x14
	v_lshrrev_b32_e32 v3, 30, v3
	s_delay_alu instid0(VALU_DEP_4) | instskip(NEXT) | instid1(VALU_DEP_2)
	v_dual_sub_nc_u32 v14, 31, v23 :: v_dual_lshlrev_b32 v27, 23, v23
	v_add_nc_u32_e32 v24, v24, v3
	s_delay_alu instid0(VALU_DEP_2) | instskip(SKIP_2) | instid1(VALU_DEP_2)
	v_alignbit_b32 v25, v25, v11, v14
	v_alignbit_b32 v7, v11, v7, v14
	v_lshlrev_b32_e32 v11, 31, v26
	v_alignbit_b32 v14, v25, v7, 9
	s_delay_alu instid0(VALU_DEP_2) | instskip(SKIP_1) | instid1(VALU_DEP_3)
	v_dual_lshrrev_b32 v25, 9, v25 :: v_dual_bitop2_b32 v26, 0.5, v11 bitop3:0x54
	v_or_b32_e32 v11, 0x33000000, v11
	v_clz_i32_u32_e32 v28, v14
	s_delay_alu instid0(VALU_DEP_3) | instskip(NEXT) | instid1(VALU_DEP_2)
	v_sub_nc_u32_e32 v26, v26, v27
	v_min_u32_e32 v27, 32, v28
	s_delay_alu instid0(VALU_DEP_1) | instskip(NEXT) | instid1(VALU_DEP_3)
	v_add_lshl_u32 v23, v27, v23, 23
	v_or_b32_e32 v25, v25, v26
	v_not_b32_e32 v26, v27
	s_delay_alu instid0(VALU_DEP_3) | instskip(NEXT) | instid1(VALU_DEP_2)
	v_sub_nc_u32_e32 v11, v11, v23
	v_alignbit_b32 v7, v14, v7, v26
	s_delay_alu instid0(VALU_DEP_1) | instskip(NEXT) | instid1(VALU_DEP_1)
	v_dual_mul_f32 v28, 0x3fc90fda, v25 :: v_dual_lshrrev_b32 v7, 9, v7
	v_fma_f32 v14, 0x3fc90fda, v25, -v28
	s_delay_alu instid0(VALU_DEP_2) | instskip(NEXT) | instid1(VALU_DEP_2)
	v_or_b32_e32 v7, v11, v7
	v_fmac_f32_e32 v14, 0x33a22168, v25
	s_delay_alu instid0(VALU_DEP_1) | instskip(NEXT) | instid1(VALU_DEP_1)
	v_fmac_f32_e32 v14, 0x3fc90fda, v7
                                        ; implicit-def: $vgpr7
	v_add_f32_e32 v23, v28, v14
	s_and_not1_saveexec_b32 s3, s31
	s_cbranch_execz .LBB6_1
	s_branch .LBB6_25
.LBB6_24:                               ;   in Loop: Header=BB6_2 Depth=1
	s_and_not1_saveexec_b32 s3, s31
	s_cbranch_execz .LBB6_1
.LBB6_25:                               ;   in Loop: Header=BB6_2 Depth=1
	v_fma_f32 v23, 0xbfc90fda, v7, |v18|
	v_cvt_i32_f32_e32 v24, v7
	s_delay_alu instid0(VALU_DEP_2) | instskip(NEXT) | instid1(VALU_DEP_1)
	v_fmac_f32_e32 v23, 0xb3a22168, v7
	v_fmac_f32_e32 v23, 0xa7c234c4, v7
	s_branch .LBB6_1
.LBB6_26:
	s_clause 0x1
	s_load_b64 s[12:13], s[0:1], 0x0
	s_load_b128 s[4:7], s[0:1], 0x48
	scratch_load_b128 v[0:3], off, off offset:272
	s_add_nc_u64 s[8:9], s[8:9], 8
	s_mov_b32 s19, 0
	s_wait_kmcnt 0x0
	s_max_i32 s13, s13, 1
	s_max_i32 s17, s12, 1
	s_mov_b32 s12, 0x42340000
	s_wait_loadcnt 0x0
	s_clause 0x3
	scratch_store_b128 off, v[0:3], off offset:3912
	scratch_load_b128 v[0:3], off, off offset:256
	scratch_load_b128 v[4:7], off, off offset:288
	scratch_load_b128 v[8:11], off, off offset:320
	s_wait_loadcnt 0x0
	s_clause 0x3
	scratch_store_b128 off, v[8:11], off offset:3960
	scratch_load_b128 v[8:11], off, off offset:304
	scratch_load_b128 v[12:15], off, off offset:336
	scratch_load_b128 v[16:19], off, off offset:368
	;; [unrolled: 6-line block ×8, first 2 shown]
	s_wait_loadcnt 0x1
	v_dual_mov_b32 v68, v59 :: v_dual_mov_b32 v69, v63
	scratch_store_b64 off, v[68:69], off offset:4312 ; 8-byte Folded Spill
	s_wait_xcnt 0x0
	v_dual_mov_b32 v68, v56 :: v_dual_mov_b32 v69, v60
	v_mov_b32_e32 v60, v57
	s_delay_alu instid0(VALU_DEP_1)
	v_mov_b64_e32 v[56:57], v[60:61]
	scratch_store_b128 off, v[56:59], off offset:4280 ; 16-byte Folded Spill
	s_wait_xcnt 0x0
	v_mov_b32_e32 v59, v62
	s_clause 0x1
	scratch_store_b64 off, v[68:69], off offset:4320
	scratch_store_b128 off, v[56:59], off offset:4264
	s_wait_xcnt 0x0
	v_dual_mov_b32 v56, v51 :: v_dual_mov_b32 v57, v55
	v_mov_b32_e32 v51, v54
	scratch_store_b64 off, v[56:57], off offset:4328 ; 8-byte Folded Spill
	s_wait_xcnt 0x0
	v_dual_mov_b32 v56, v48 :: v_dual_mov_b32 v57, v52
	v_mov_b32_e32 v52, v49
	scratch_store_b128 off, v[48:51], off offset:4216 ; 16-byte Folded Spill
	s_wait_xcnt 0x0
	v_dual_mov_b32 v48, v43 :: v_dual_mov_b32 v49, v47
	v_mov_b32_e32 v43, v46
	s_clause 0x1
	scratch_store_b128 off, v[52:55], off offset:4232
	scratch_store_b64 off, v[48:49], off offset:4344
	s_wait_xcnt 0x0
	v_dual_mov_b32 v48, v40 :: v_dual_mov_b32 v49, v44
	v_mov_b32_e32 v44, v41
	scratch_store_b128 off, v[40:43], off offset:4168 ; 16-byte Folded Spill
	s_wait_xcnt 0x0
	v_dual_mov_b32 v40, v35 :: v_dual_mov_b32 v41, v39
	s_clause 0x1
	scratch_store_b64 off, v[48:49], off offset:4352
	scratch_store_b128 off, v[44:47], off offset:4184
	v_mov_b32_e32 v35, v38
	scratch_store_b64 off, v[40:41], off offset:4360 ; 8-byte Folded Spill
	s_wait_xcnt 0x0
	v_dual_mov_b32 v40, v32 :: v_dual_mov_b32 v41, v36
	v_mov_b32_e32 v36, v33
	scratch_store_b128 off, v[32:35], off offset:4120 ; 16-byte Folded Spill
	s_wait_xcnt 0x0
	v_dual_mov_b32 v32, v27 :: v_dual_mov_b32 v33, v31
	s_clause 0x1
	scratch_store_b64 off, v[40:41], off offset:4368
	scratch_store_b128 off, v[36:39], off offset:4136
	v_mov_b32_e32 v27, v30
	scratch_store_b64 off, v[32:33], off offset:4376 ; 8-byte Folded Spill
	s_wait_xcnt 0x0
	v_dual_mov_b32 v32, v24 :: v_dual_mov_b32 v33, v28
	v_mov_b32_e32 v28, v25
	scratch_store_b128 off, v[24:27], off offset:4072 ; 16-byte Folded Spill
	s_wait_xcnt 0x0
	v_dual_mov_b32 v24, v19 :: v_dual_mov_b32 v25, v23
	s_clause 0x1
	scratch_store_b64 off, v[32:33], off offset:4384
	scratch_store_b128 off, v[28:31], off offset:4088
	v_mov_b32_e32 v19, v22
	scratch_store_b64 off, v[24:25], off offset:4392 ; 8-byte Folded Spill
	s_wait_xcnt 0x0
	v_dual_mov_b32 v24, v16 :: v_dual_mov_b32 v25, v20
	v_mov_b32_e32 v20, v17
	scratch_store_b128 off, v[16:19], off offset:4024 ; 16-byte Folded Spill
	s_wait_xcnt 0x0
	v_dual_mov_b32 v16, v11 :: v_dual_mov_b32 v17, v15
	s_clause 0x1
	scratch_store_b64 off, v[24:25], off offset:4400
	scratch_store_b128 off, v[20:23], off offset:4040
	v_mov_b32_e32 v11, v14
	scratch_store_b64 off, v[16:17], off offset:4408 ; 8-byte Folded Spill
	s_wait_xcnt 0x0
	v_dual_mov_b32 v16, v8 :: v_dual_mov_b32 v17, v12
	v_mov_b32_e32 v12, v9
	scratch_store_b128 off, v[8:11], off offset:3976 ; 16-byte Folded Spill
	s_wait_xcnt 0x0
	v_dual_mov_b32 v8, v3 :: v_dual_mov_b32 v9, v7
	s_clause 0x1
	scratch_store_b64 off, v[16:17], off offset:4416
	scratch_store_b128 off, v[12:15], off offset:3992
	v_mov_b32_e32 v3, v6
	scratch_store_b64 off, v[8:9], off offset:4424 ; 8-byte Folded Spill
	s_wait_xcnt 0x0
	v_dual_mov_b32 v8, v0 :: v_dual_mov_b32 v9, v4
	v_mov_b32_e32 v4, v1
	s_clause 0x3
	scratch_store_b128 off, v[0:3], off offset:3928
	scratch_load_b128 v[0:3], off, off offset:656
	scratch_store_b64 off, v[8:9], off offset:4432
	scratch_store_b128 off, v[4:7], off offset:3944
	s_wait_loadcnt 0x0
	s_clause 0x1
	scratch_store_b128 off, v[0:3], off offset:4440
	scratch_load_b128 v[0:3], off, off offset:672
	s_wait_loadcnt 0x0
	v_dual_mov_b32 v4, v64 :: v_dual_mov_b32 v5, v0
	v_mov_b32_e32 v0, v65
	scratch_store_b64 off, v[4:5], off offset:4472 ; 8-byte Folded Spill
	s_wait_xcnt 0x0
	v_dual_mov_b32 v4, v67 :: v_dual_mov_b32 v5, v3
	v_mov_b32_e32 v67, v2
	s_clause 0x4
	scratch_store_b128 off, v[0:3], off offset:4456
	scratch_load_b128 v[0:3], off, off offset:704
	scratch_store_b64 off, v[56:57], off offset:4336
	scratch_store_b64 off, v[4:5], off offset:4480
	scratch_store_b128 off, v[64:67], off offset:4296
	s_wait_loadcnt 0x0
	s_clause 0x2
	scratch_store_b128 off, v[0:3], off offset:4488
	scratch_load_b128 v[0:3], off, off offset:688
	scratch_load_b128 v[4:7], off, off offset:720
	s_wait_loadcnt 0x0
	v_dual_mov_b32 v8, v0 :: v_dual_mov_b32 v9, v4
	v_mov_b32_e32 v4, v1
	s_delay_alu instid0(VALU_DEP_1)
	v_mov_b64_e32 v[0:1], v[4:5]
	scratch_store_b64 off, v[8:9], off offset:4536 ; 8-byte Folded Spill
	s_wait_xcnt 0x0
	v_dual_mov_b32 v8, v3 :: v_dual_mov_b32 v9, v7
	scratch_store_b128 off, v[0:3], off offset:4520 ; 16-byte Folded Spill
	s_wait_xcnt 0x0
	v_mov_b32_e32 v3, v6
	s_clause 0x2
	scratch_store_b64 off, v[8:9], off offset:4544
	scratch_store_b128 off, v[0:3], off offset:4504
	scratch_load_b128 v[0:3], off, off offset:752
	s_wait_loadcnt 0x0
	s_clause 0x2
	scratch_store_b128 off, v[0:3], off offset:4552
	scratch_load_b128 v[0:3], off, off offset:736
	scratch_load_b128 v[4:7], off, off offset:768
	s_wait_loadcnt 0x0
	v_dual_mov_b32 v8, v0 :: v_dual_mov_b32 v9, v4
	v_mov_b32_e32 v4, v1
	s_delay_alu instid0(VALU_DEP_1)
	v_mov_b64_e32 v[0:1], v[4:5]
	scratch_store_b64 off, v[8:9], off offset:4600 ; 8-byte Folded Spill
	s_wait_xcnt 0x0
	v_dual_mov_b32 v8, v3 :: v_dual_mov_b32 v9, v7
	scratch_store_b128 off, v[0:3], off offset:4584 ; 16-byte Folded Spill
	s_wait_xcnt 0x0
	v_mov_b32_e32 v3, v6
	s_clause 0x2
	scratch_store_b64 off, v[8:9], off offset:4608
	scratch_store_b128 off, v[0:3], off offset:4568
	scratch_load_b128 v[0:3], off, off offset:800
	;; [unrolled: 20-line block ×23, first 2 shown]
	s_wait_loadcnt 0x0
	s_clause 0x2
	scratch_store_b128 off, v[0:3], off offset:5960
	scratch_load_b128 v[0:3], off, off offset:1792
	scratch_load_b128 v[4:7], off, off offset:1824
	s_wait_loadcnt 0x0
	v_dual_mov_b32 v8, v0 :: v_dual_mov_b32 v9, v4
	v_mov_b32_e32 v4, v1
	s_delay_alu instid0(VALU_DEP_1)
	v_mov_b64_e32 v[0:1], v[4:5]
	scratch_store_b64 off, v[8:9], off offset:6008 ; 8-byte Folded Spill
	s_wait_xcnt 0x0
	v_dual_mov_b32 v8, v3 :: v_dual_mov_b32 v9, v7
	scratch_store_b128 off, v[0:3], off offset:5992 ; 16-byte Folded Spill
	s_wait_xcnt 0x0
	v_mov_b32_e32 v3, v6
	s_clause 0x2
	scratch_store_b64 off, v[8:9], off offset:6016
	scratch_store_b128 off, v[0:3], off offset:5976
	scratch_load_b32 v0, off, off offset:1868
	s_wait_loadcnt 0x0
	s_clause 0x1
	scratch_store_b32 off, v0, off offset:6024
	scratch_load_b32 v0, off, off offset:1856
	s_wait_loadcnt 0x0
	scratch_store_b32 off, v0, off offset:6028 ; 4-byte Folded Spill
.LBB6_27:                               ; =>This Loop Header: Depth=1
                                        ;     Child Loop BB6_28 Depth 2
	s_clause 0x2
	scratch_load_b128 v[28:31], off, off offset:1840
	scratch_load_b128 v[0:3], off, off offset:1872
	;; [unrolled: 1-line block ×3, first 2 shown]
	s_mov_b32 s29, s13
	s_mov_b64 s[14:15], s[8:9]
	scratch_load_b128 v[40:43], off, off offset:1936
	s_wait_loadcnt 0x2
	v_dual_mov_b32 v8, v28 :: v_dual_mov_b32 v9, v0
	v_dual_mov_b32 v0, s19 :: v_dual_mov_b32 v10, v31
	v_dual_mov_b32 v11, v3 :: v_dual_mov_b32 v31, v2
	s_wait_loadcnt 0x1
	v_mov_b32_e32 v2, v20
	global_load_b128 v[4:7], v0, s[10:11] scale_offset
	s_wait_xcnt 0x0
	v_dual_mov_b32 v0, v29 :: v_dual_mov_b32 v12, v23
	s_wait_loadcnt 0x1
	v_mov_b32_e32 v14, v43
	s_wait_loadcnt 0x0
	v_pk_fma_f32 v[8:9], v[4:5], v[8:9], v[10:11] op_sel_hi:[0,1,1]
	s_delay_alu instid0(VALU_DEP_1)
	v_pk_fma_f32 v[0:1], v[4:5], v[0:1], v[8:9] op_sel:[1,0,0]
	scratch_load_b128 v[8:11], off, off offset:1920
	v_pk_fma_f32 v[0:1], v[6:7], v[30:31], v[0:1] op_sel_hi:[0,1,1]
	s_wait_loadcnt 0x0
	v_dual_mov_b32 v3, v8 :: v_dual_mov_b32 v13, v11
	v_dual_mov_b32 v8, v21 :: v_dual_mov_b32 v23, v10
	s_delay_alu instid0(VALU_DEP_2) | instskip(SKIP_1) | instid1(VALU_DEP_2)
	v_pk_fma_f32 v[2:3], v[4:5], v[2:3], v[12:13] op_sel_hi:[0,1,1]
	v_mov_b32_e32 v12, v40
	v_pk_fma_f32 v[2:3], v[4:5], v[8:9], v[2:3] op_sel:[1,0,0]
	s_clause 0x2
	scratch_load_b128 v[8:11], off, off offset:1968
	scratch_load_b128 v[32:35], off, off offset:1984
	scratch_load_b128 v[60:63], off, off offset:2032
	s_wait_loadcnt 0x2
	v_dual_mov_b32 v13, v8 :: v_dual_mov_b32 v15, v11
	v_dual_mov_b32 v8, v41 :: v_dual_mov_b32 v43, v10
	s_wait_loadcnt 0x0
	v_dual_mov_b32 v16, v35 :: v_dual_mov_b32 v18, v63
	s_delay_alu instid0(VALU_DEP_3) | instskip(SKIP_1) | instid1(VALU_DEP_2)
	v_pk_fma_f32 v[12:13], v[4:5], v[12:13], v[14:15] op_sel_hi:[0,1,1]
	v_mov_b32_e32 v14, v32
	v_pk_fma_f32 v[8:9], v[4:5], v[8:9], v[12:13] op_sel:[1,0,0]
	scratch_load_b128 v[10:13], off, off offset:2016
	s_wait_loadcnt 0x0
	v_dual_mov_b32 v15, v10 :: v_dual_mov_b32 v17, v13
	v_dual_mov_b32 v10, v33 :: v_dual_mov_b32 v35, v12
	s_delay_alu instid0(VALU_DEP_2) | instskip(SKIP_1) | instid1(VALU_DEP_2)
	v_pk_fma_f32 v[14:15], v[4:5], v[14:15], v[16:17] op_sel_hi:[0,1,1]
	v_mov_b32_e32 v16, v60
	v_pk_fma_f32 v[10:11], v[4:5], v[10:11], v[14:15] op_sel:[1,0,0]
	s_clause 0x2
	scratch_load_b128 v[12:15], off, off offset:2064
	scratch_load_b128 v[48:51], off, off offset:2080
	scratch_load_b128 v[68:71], off, off offset:2128
	s_wait_loadcnt 0x2
	v_dual_mov_b32 v17, v12 :: v_dual_mov_b32 v19, v15
	v_dual_mov_b32 v12, v61 :: v_dual_mov_b32 v63, v14
	s_wait_loadcnt 0x0
	v_dual_mov_b32 v20, v51 :: v_dual_mov_b32 v24, v71
	s_delay_alu instid0(VALU_DEP_3) | instskip(SKIP_1) | instid1(VALU_DEP_2)
	v_pk_fma_f32 v[16:17], v[4:5], v[16:17], v[18:19] op_sel_hi:[0,1,1]
	v_mov_b32_e32 v18, v48
	v_pk_fma_f32 v[12:13], v[4:5], v[12:13], v[16:17] op_sel:[1,0,0]
	scratch_load_b128 v[14:17], off, off offset:2112
	;; [unrolled: 21-line block ×3, first 2 shown]
	s_wait_loadcnt 0x0
	v_dual_mov_b32 v25, v18 :: v_dual_mov_b32 v27, v21
	v_dual_mov_b32 v18, v65 :: v_dual_mov_b32 v67, v20
	v_mov_b32_e32 v20, v76
	s_delay_alu instid0(VALU_DEP_3) | instskip(NEXT) | instid1(VALU_DEP_1)
	v_pk_fma_f32 v[24:25], v[4:5], v[24:25], v[26:27] op_sel_hi:[0,1,1]
	v_pk_fma_f32 v[18:19], v[4:5], v[18:19], v[24:25] op_sel:[1,0,0]
	s_clause 0x2
	scratch_load_b128 v[24:27], off, off offset:2256
	scratch_load_b128 v[72:75], off, off offset:2272
	;; [unrolled: 1-line block ×3, first 2 shown]
	s_wait_loadcnt 0x2
	v_dual_mov_b32 v21, v24 :: v_dual_mov_b32 v29, v27
	v_dual_mov_b32 v24, v77 :: v_dual_mov_b32 v79, v26
	s_wait_loadcnt 0x0
	v_dual_mov_b32 v32, v75 :: v_dual_mov_b32 v36, v95
	s_delay_alu instid0(VALU_DEP_3) | instskip(SKIP_1) | instid1(VALU_DEP_2)
	v_pk_fma_f32 v[20:21], v[4:5], v[20:21], v[28:29] op_sel_hi:[0,1,1]
	v_mov_b32_e32 v28, v72
	v_pk_fma_f32 v[20:21], v[4:5], v[24:25], v[20:21] op_sel:[1,0,0]
	scratch_load_b128 v[24:27], off, off offset:2304
	s_wait_loadcnt 0x0
	v_dual_mov_b32 v29, v24 :: v_dual_mov_b32 v33, v27
	v_dual_mov_b32 v24, v73 :: v_dual_mov_b32 v75, v26
	s_delay_alu instid0(VALU_DEP_2) | instskip(SKIP_1) | instid1(VALU_DEP_2)
	v_pk_fma_f32 v[28:29], v[4:5], v[28:29], v[32:33] op_sel_hi:[0,1,1]
	v_mov_b32_e32 v32, v92
	v_pk_fma_f32 v[24:25], v[4:5], v[24:25], v[28:29] op_sel:[1,0,0]
	s_clause 0x2
	scratch_load_b128 v[26:29], off, off offset:2352
	scratch_load_b128 v[84:87], off, off offset:2368
	;; [unrolled: 1-line block ×3, first 2 shown]
	s_wait_loadcnt 0x2
	v_dual_mov_b32 v33, v26 :: v_dual_mov_b32 v37, v29
	v_dual_mov_b32 v26, v93 :: v_dual_mov_b32 v95, v28
	s_wait_loadcnt 0x0
	v_dual_mov_b32 v28, v84 :: v_dual_mov_b32 v40, v115
	s_delay_alu instid0(VALU_DEP_3)
	v_pk_fma_f32 v[32:33], v[4:5], v[32:33], v[36:37] op_sel_hi:[0,1,1]
	scratch_load_b128 v[36:39], off, off offset:2400
	v_pk_fma_f32 v[26:27], v[4:5], v[26:27], v[32:33] op_sel:[1,0,0]
	s_wait_loadcnt 0x0
	v_dual_mov_b32 v32, v87 :: v_dual_mov_b32 v29, v36
	v_dual_mov_b32 v33, v39 :: v_dual_mov_b32 v36, v85
	v_mov_b32_e32 v87, v38
	s_delay_alu instid0(VALU_DEP_2) | instskip(SKIP_1) | instid1(VALU_DEP_2)
	v_pk_fma_f32 v[28:29], v[4:5], v[28:29], v[32:33] op_sel_hi:[0,1,1]
	v_mov_b32_e32 v32, v112
	v_pk_fma_f32 v[28:29], v[4:5], v[36:37], v[28:29] op_sel:[1,0,0]
	s_clause 0x2
	scratch_load_b128 v[36:39], off, off offset:2448
	scratch_load_b128 v[98:101], off, off offset:2464
	scratch_load_b128 v[120:123], off, off offset:2512
	s_wait_loadcnt 0x2
	v_dual_mov_b32 v33, v36 :: v_dual_mov_b32 v41, v39
	v_dual_mov_b32 v36, v113 :: v_dual_mov_b32 v115, v38
	s_wait_loadcnt 0x0
	v_dual_mov_b32 v44, v101 :: v_dual_mov_b32 v46, v123
	s_delay_alu instid0(VALU_DEP_3) | instskip(SKIP_1) | instid1(VALU_DEP_2)
	v_pk_fma_f32 v[32:33], v[4:5], v[32:33], v[40:41] op_sel_hi:[0,1,1]
	v_mov_b32_e32 v40, v98
	v_pk_fma_f32 v[32:33], v[4:5], v[36:37], v[32:33] op_sel:[1,0,0]
	scratch_load_b128 v[36:39], off, off offset:2496
	s_wait_loadcnt 0x0
	v_dual_mov_b32 v41, v36 :: v_dual_mov_b32 v45, v39
	v_dual_mov_b32 v36, v99 :: v_dual_mov_b32 v101, v38
	s_delay_alu instid0(VALU_DEP_2) | instskip(SKIP_1) | instid1(VALU_DEP_2)
	v_pk_fma_f32 v[40:41], v[4:5], v[40:41], v[44:45] op_sel_hi:[0,1,1]
	v_mov_b32_e32 v44, v120
	v_pk_fma_f32 v[36:37], v[4:5], v[36:37], v[40:41] op_sel:[1,0,0]
	s_clause 0x2
	scratch_load_b128 v[38:41], off, off offset:2544
	scratch_load_b128 v[116:119], off, off offset:2560
	;; [unrolled: 1-line block ×3, first 2 shown]
	s_wait_loadcnt 0x2
	v_dual_mov_b32 v45, v38 :: v_dual_mov_b32 v47, v41
	v_dual_mov_b32 v38, v121 :: v_dual_mov_b32 v123, v40
	s_wait_loadcnt 0x1
	v_dual_mov_b32 v40, v116 :: v_dual_mov_b32 v48, v119
	s_delay_alu instid0(VALU_DEP_3) | instskip(SKIP_2) | instid1(VALU_DEP_2)
	v_pk_fma_f32 v[44:45], v[4:5], v[44:45], v[46:47] op_sel_hi:[0,1,1]
	s_wait_loadcnt 0x0
	v_mov_b32_e32 v52, v99
	v_pk_fma_f32 v[38:39], v[4:5], v[38:39], v[44:45] op_sel:[1,0,0]
	scratch_load_b128 v[44:47], off, off offset:2592
	s_wait_loadcnt 0x0
	v_dual_mov_b32 v41, v44 :: v_dual_mov_b32 v49, v47
	v_dual_mov_b32 v44, v117 :: v_dual_mov_b32 v119, v46
	s_delay_alu instid0(VALU_DEP_2) | instskip(SKIP_1) | instid1(VALU_DEP_2)
	v_pk_fma_f32 v[40:41], v[4:5], v[40:41], v[48:49] op_sel_hi:[0,1,1]
	v_mov_b32_e32 v48, v96
	v_pk_fma_f32 v[40:41], v[4:5], v[44:45], v[40:41] op_sel:[1,0,0]
	s_clause 0x1
	scratch_load_b128 v[44:47], off, off offset:2640
	scratch_load_b128 v[124:127], off, off offset:2656
	s_wait_loadcnt 0x1
	v_dual_mov_b32 v49, v44 :: v_dual_mov_b32 v53, v47
	v_dual_mov_b32 v44, v97 :: v_dual_mov_b32 v99, v46
	s_wait_loadcnt 0x0
	v_mov_b32_e32 v54, v127
	s_delay_alu instid0(VALU_DEP_3) | instskip(SKIP_1) | instid1(VALU_DEP_2)
	v_pk_fma_f32 v[48:49], v[4:5], v[48:49], v[52:53] op_sel_hi:[0,1,1]
	v_mov_b32_e32 v52, v124
	v_pk_fma_f32 v[44:45], v[4:5], v[44:45], v[48:49] op_sel:[1,0,0]
	scratch_load_b128 v[46:49], off, off offset:2688
	s_wait_loadcnt 0x0
	v_dual_mov_b32 v53, v46 :: v_dual_mov_b32 v55, v49
	v_mov_b32_e32 v46, v125
	s_delay_alu instid0(VALU_DEP_2) | instskip(NEXT) | instid1(VALU_DEP_1)
	v_pk_fma_f32 v[52:53], v[4:5], v[52:53], v[54:55] op_sel_hi:[0,1,1]
	v_pk_fma_f32 v[60:61], v[4:5], v[46:47], v[52:53] op_sel:[1,0,0]
	scratch_load_b128 v[52:55], off, off offset:2704
	v_mov_b32_e32 v127, v48
	s_clause 0x1
	scratch_load_b128 v[46:49], off, off offset:2736
	scratch_load_b128 v[80:83], off, off offset:2752
	s_wait_loadcnt 0x1
	v_dual_mov_b32 v56, v52 :: v_dual_mov_b32 v57, v46
	v_dual_mov_b32 v58, v55 :: v_dual_mov_b32 v59, v49
	;; [unrolled: 1-line block ×3, first 2 shown]
	s_delay_alu instid0(VALU_DEP_2) | instskip(SKIP_2) | instid1(VALU_DEP_2)
	v_pk_fma_f32 v[56:57], v[4:5], v[56:57], v[58:59] op_sel_hi:[0,1,1]
	s_wait_loadcnt 0x0
	v_mov_b32_e32 v58, v83
	v_pk_fma_f32 v[52:53], v[4:5], v[46:47], v[56:57] op_sel:[1,0,0]
	scratch_load_b128 v[46:49], off, off offset:2784
	s_wait_loadcnt 0x0
	v_dual_mov_b32 v56, v80 :: v_dual_mov_b32 v57, v46
	v_dual_mov_b32 v59, v49 :: v_dual_mov_b32 v46, v81
	v_mov_b32_e32 v83, v48
	s_delay_alu instid0(VALU_DEP_2) | instskip(NEXT) | instid1(VALU_DEP_1)
	v_pk_fma_f32 v[56:57], v[4:5], v[56:57], v[58:59] op_sel_hi:[0,1,1]
	v_pk_fma_f32 v[64:65], v[4:5], v[46:47], v[56:57] op_sel:[1,0,0]
	s_clause 0x3
	scratch_load_b128 v[46:49], off, off offset:2800
	scratch_load_b128 v[56:59], off, off offset:2832
	;; [unrolled: 1-line block ×3, first 2 shown]
	scratch_store_b64 off, v[0:1], off offset:3328
	s_wait_loadcnt 0x1
	v_dual_mov_b32 v69, v56 :: v_dual_mov_b32 v72, v49
	v_dual_mov_b32 v68, v46 :: v_dual_mov_b32 v73, v59
	;; [unrolled: 1-line block ×3, first 2 shown]
	s_delay_alu instid0(VALU_DEP_2) | instskip(SKIP_2) | instid1(VALU_DEP_2)
	v_pk_fma_f32 v[68:69], v[4:5], v[68:69], v[72:73] op_sel_hi:[0,1,1]
	s_wait_loadcnt 0x0
	v_mov_b32_e32 v72, v91
	v_pk_fma_f32 v[46:47], v[4:5], v[56:57], v[68:69] op_sel:[1,0,0]
	scratch_load_b128 v[56:59], off, off offset:2880
	s_wait_loadcnt 0x0
	v_dual_mov_b32 v68, v88 :: v_dual_mov_b32 v69, v56
	v_dual_mov_b32 v73, v59 :: v_dual_mov_b32 v56, v89
	v_mov_b32_e32 v91, v58
	s_delay_alu instid0(VALU_DEP_2) | instskip(NEXT) | instid1(VALU_DEP_1)
	v_pk_fma_f32 v[68:69], v[4:5], v[68:69], v[72:73] op_sel_hi:[0,1,1]
	v_pk_fma_f32 v[68:69], v[4:5], v[56:57], v[68:69] op_sel:[1,0,0]
	scratch_load_b128 v[56:59], off, off offset:1904
	s_wait_loadcnt 0x0
	s_wait_xcnt 0x2
	v_fma_f32 v0, v4, v56, v59
	s_delay_alu instid0(VALU_DEP_1) | instskip(NEXT) | instid1(VALU_DEP_1)
	v_fmac_f32_e32 v0, v5, v57
	v_fmac_f32_e32 v0, v6, v58
	scratch_store_b32 off, v0, off offset:3336 ; 4-byte Folded Spill
	s_wait_xcnt 0x0
	v_pk_fma_f32 v[0:1], v[6:7], v[22:23], v[2:3] op_sel_hi:[0,1,1]
	s_clause 0x1
	scratch_store_b64 off, v[0:1], off offset:3340
	scratch_load_b128 v[0:3], off, off offset:1952
	s_wait_loadcnt 0x0
	v_fma_f32 v0, v4, v0, v3
	s_delay_alu instid0(VALU_DEP_1) | instskip(NEXT) | instid1(VALU_DEP_1)
	v_fmac_f32_e32 v0, v5, v1
	v_fmac_f32_e32 v0, v6, v2
	scratch_store_b32 off, v0, off offset:3348 ; 4-byte Folded Spill
	s_wait_xcnt 0x0
	v_pk_fma_f32 v[0:1], v[6:7], v[42:43], v[8:9] op_sel_hi:[0,1,1]
	s_clause 0x1
	scratch_store_b64 off, v[0:1], off offset:3352
	scratch_load_b128 v[0:3], off, off offset:2000
	s_wait_loadcnt 0x0
	v_fma_f32 v0, v4, v0, v3
	s_delay_alu instid0(VALU_DEP_1) | instskip(NEXT) | instid1(VALU_DEP_1)
	v_fmac_f32_e32 v0, v5, v1
	v_fmac_f32_e32 v0, v6, v2
	scratch_store_b32 off, v0, off offset:3360 ; 4-byte Folded Spill
	s_wait_xcnt 0x0
	v_pk_fma_f32 v[0:1], v[6:7], v[34:35], v[10:11] op_sel_hi:[0,1,1]
	s_clause 0x1
	scratch_store_b64 off, v[0:1], off offset:3364
	scratch_load_b128 v[0:3], off, off offset:2048
	s_wait_loadcnt 0x0
	v_fma_f32 v0, v4, v0, v3
	s_delay_alu instid0(VALU_DEP_1) | instskip(NEXT) | instid1(VALU_DEP_1)
	v_fmac_f32_e32 v0, v5, v1
	v_fmac_f32_e32 v0, v6, v2
	scratch_store_b32 off, v0, off offset:3372 ; 4-byte Folded Spill
	s_wait_xcnt 0x0
	v_pk_fma_f32 v[0:1], v[6:7], v[62:63], v[12:13] op_sel_hi:[0,1,1]
	s_clause 0x1
	scratch_store_b64 off, v[0:1], off offset:3376
	scratch_load_b128 v[0:3], off, off offset:2096
	s_wait_loadcnt 0x0
	v_fma_f32 v0, v4, v0, v3
	s_delay_alu instid0(VALU_DEP_1) | instskip(NEXT) | instid1(VALU_DEP_1)
	v_fmac_f32_e32 v0, v5, v1
	v_fmac_f32_e32 v0, v6, v2
	scratch_store_b32 off, v0, off offset:3384 ; 4-byte Folded Spill
	s_wait_xcnt 0x0
	v_pk_fma_f32 v[0:1], v[6:7], v[50:51], v[14:15] op_sel_hi:[0,1,1]
	s_clause 0x1
	scratch_store_b64 off, v[0:1], off offset:3388
	scratch_load_b128 v[0:3], off, off offset:2144
	s_wait_loadcnt 0x0
	v_fma_f32 v0, v4, v0, v3
	s_delay_alu instid0(VALU_DEP_1) | instskip(NEXT) | instid1(VALU_DEP_1)
	v_fmac_f32_e32 v0, v5, v1
	v_fmac_f32_e32 v0, v6, v2
	scratch_store_b32 off, v0, off offset:3396 ; 4-byte Folded Spill
	s_wait_xcnt 0x0
	v_pk_fma_f32 v[0:1], v[6:7], v[70:71], v[16:17] op_sel_hi:[0,1,1]
	s_clause 0x1
	scratch_store_b64 off, v[0:1], off offset:3400
	scratch_load_b128 v[0:3], off, off offset:2192
	s_wait_loadcnt 0x0
	v_fma_f32 v0, v4, v0, v3
	s_delay_alu instid0(VALU_DEP_1) | instskip(NEXT) | instid1(VALU_DEP_1)
	v_fmac_f32_e32 v0, v5, v1
	v_fmac_f32_e32 v0, v6, v2
	scratch_store_b32 off, v0, off offset:3408 ; 4-byte Folded Spill
	s_wait_xcnt 0x0
	v_pk_fma_f32 v[0:1], v[6:7], v[66:67], v[18:19] op_sel_hi:[0,1,1]
	s_clause 0x1
	scratch_store_b64 off, v[0:1], off offset:3412
	scratch_load_b128 v[0:3], off, off offset:2240
	s_wait_loadcnt 0x0
	v_fma_f32 v0, v4, v0, v3
	s_delay_alu instid0(VALU_DEP_1) | instskip(NEXT) | instid1(VALU_DEP_1)
	v_fmac_f32_e32 v0, v5, v1
	v_fmac_f32_e32 v0, v6, v2
	scratch_store_b32 off, v0, off offset:3420 ; 4-byte Folded Spill
	s_wait_xcnt 0x0
	v_pk_fma_f32 v[0:1], v[6:7], v[78:79], v[20:21] op_sel_hi:[0,1,1]
	s_clause 0x1
	scratch_store_b64 off, v[0:1], off offset:3424
	scratch_load_b128 v[0:3], off, off offset:2288
	s_wait_loadcnt 0x0
	v_fma_f32 v0, v4, v0, v3
	s_delay_alu instid0(VALU_DEP_1) | instskip(NEXT) | instid1(VALU_DEP_1)
	v_fmac_f32_e32 v0, v5, v1
	v_fmac_f32_e32 v0, v6, v2
	scratch_store_b32 off, v0, off offset:3432 ; 4-byte Folded Spill
	s_wait_xcnt 0x0
	v_pk_fma_f32 v[0:1], v[6:7], v[74:75], v[24:25] op_sel_hi:[0,1,1]
	s_clause 0x1
	scratch_store_b64 off, v[0:1], off offset:3436
	scratch_load_b128 v[0:3], off, off offset:2336
	s_wait_loadcnt 0x0
	v_fma_f32 v0, v4, v0, v3
	s_delay_alu instid0(VALU_DEP_1) | instskip(NEXT) | instid1(VALU_DEP_1)
	v_fmac_f32_e32 v0, v5, v1
	v_fmac_f32_e32 v0, v6, v2
	scratch_store_b32 off, v0, off offset:3444 ; 4-byte Folded Spill
	s_wait_xcnt 0x0
	v_pk_fma_f32 v[0:1], v[6:7], v[94:95], v[26:27] op_sel_hi:[0,1,1]
	s_clause 0x1
	scratch_store_b64 off, v[0:1], off offset:3448
	scratch_load_b128 v[0:3], off, off offset:2384
	s_wait_loadcnt 0x0
	v_fma_f32 v0, v4, v0, v3
	s_delay_alu instid0(VALU_DEP_1) | instskip(NEXT) | instid1(VALU_DEP_1)
	v_fmac_f32_e32 v0, v5, v1
	v_fmac_f32_e32 v0, v6, v2
	scratch_store_b32 off, v0, off offset:3456 ; 4-byte Folded Spill
	s_wait_xcnt 0x0
	v_pk_fma_f32 v[0:1], v[6:7], v[86:87], v[28:29] op_sel_hi:[0,1,1]
	s_clause 0x1
	scratch_store_b64 off, v[0:1], off offset:3460
	scratch_load_b128 v[0:3], off, off offset:2432
	s_wait_loadcnt 0x0
	v_fma_f32 v0, v4, v0, v3
	s_delay_alu instid0(VALU_DEP_1) | instskip(NEXT) | instid1(VALU_DEP_1)
	v_fmac_f32_e32 v0, v5, v1
	v_fmac_f32_e32 v0, v6, v2
	scratch_store_b32 off, v0, off offset:3468 ; 4-byte Folded Spill
	s_wait_xcnt 0x0
	v_pk_fma_f32 v[0:1], v[6:7], v[114:115], v[32:33] op_sel_hi:[0,1,1]
	s_clause 0x1
	scratch_store_b64 off, v[0:1], off offset:3472
	scratch_load_b128 v[0:3], off, off offset:2480
	s_wait_loadcnt 0x0
	v_fma_f32 v0, v4, v0, v3
	s_delay_alu instid0(VALU_DEP_1) | instskip(NEXT) | instid1(VALU_DEP_1)
	v_fmac_f32_e32 v0, v5, v1
	v_fmac_f32_e32 v0, v6, v2
	scratch_store_b32 off, v0, off offset:3480 ; 4-byte Folded Spill
	s_wait_xcnt 0x0
	v_pk_fma_f32 v[0:1], v[6:7], v[100:101], v[36:37] op_sel_hi:[0,1,1]
	s_clause 0x1
	scratch_store_b64 off, v[0:1], off offset:3484
	scratch_load_b128 v[0:3], off, off offset:2528
	s_wait_loadcnt 0x0
	v_fma_f32 v0, v4, v0, v3
	s_delay_alu instid0(VALU_DEP_1) | instskip(NEXT) | instid1(VALU_DEP_1)
	v_fmac_f32_e32 v0, v5, v1
	v_fmac_f32_e32 v0, v6, v2
	scratch_store_b32 off, v0, off offset:3492 ; 4-byte Folded Spill
	s_wait_xcnt 0x0
	v_pk_fma_f32 v[0:1], v[6:7], v[122:123], v[38:39] op_sel_hi:[0,1,1]
	s_clause 0x1
	scratch_store_b64 off, v[0:1], off offset:3496
	scratch_load_b128 v[0:3], off, off offset:2576
	s_wait_loadcnt 0x0
	v_fma_f32 v0, v4, v0, v3
	s_delay_alu instid0(VALU_DEP_1) | instskip(NEXT) | instid1(VALU_DEP_1)
	v_fmac_f32_e32 v0, v5, v1
	v_fmac_f32_e32 v0, v6, v2
	scratch_store_b32 off, v0, off offset:3504 ; 4-byte Folded Spill
	s_wait_xcnt 0x0
	v_pk_fma_f32 v[0:1], v[6:7], v[118:119], v[40:41] op_sel_hi:[0,1,1]
	s_clause 0x1
	scratch_store_b64 off, v[0:1], off offset:3508
	scratch_load_b128 v[0:3], off, off offset:2624
	s_wait_loadcnt 0x0
	v_fma_f32 v0, v4, v0, v3
	s_delay_alu instid0(VALU_DEP_1) | instskip(NEXT) | instid1(VALU_DEP_1)
	v_fmac_f32_e32 v0, v5, v1
	v_fmac_f32_e32 v0, v6, v2
	scratch_store_b32 off, v0, off offset:3516 ; 4-byte Folded Spill
	s_wait_xcnt 0x0
	v_pk_fma_f32 v[0:1], v[6:7], v[98:99], v[44:45] op_sel_hi:[0,1,1]
	s_clause 0x1
	scratch_store_b64 off, v[0:1], off offset:3520
	scratch_load_b128 v[0:3], off, off offset:2672
	s_wait_loadcnt 0x0
	v_fma_f32 v0, v4, v0, v3
	s_delay_alu instid0(VALU_DEP_1) | instskip(NEXT) | instid1(VALU_DEP_1)
	v_fmac_f32_e32 v0, v5, v1
	v_fmac_f32_e32 v0, v6, v2
	scratch_store_b32 off, v0, off offset:3528 ; 4-byte Folded Spill
	s_wait_xcnt 0x0
	v_pk_fma_f32 v[0:1], v[6:7], v[126:127], v[60:61] op_sel_hi:[0,1,1]
	s_clause 0x1
	scratch_store_b64 off, v[0:1], off offset:3532
	scratch_load_b128 v[0:3], off, off offset:2720
	s_wait_loadcnt 0x0
	v_fma_f32 v0, v4, v0, v3
	s_delay_alu instid0(VALU_DEP_1) | instskip(NEXT) | instid1(VALU_DEP_1)
	v_fmac_f32_e32 v0, v5, v1
	v_fmac_f32_e32 v0, v6, v2
	scratch_store_b32 off, v0, off offset:3540 ; 4-byte Folded Spill
	s_wait_xcnt 0x0
	v_pk_fma_f32 v[0:1], v[6:7], v[54:55], v[52:53] op_sel_hi:[0,1,1]
	s_clause 0x1
	scratch_store_b64 off, v[0:1], off offset:3544
	scratch_load_b128 v[0:3], off, off offset:2768
	s_wait_loadcnt 0x0
	v_fma_f32 v0, v4, v0, v3
	s_delay_alu instid0(VALU_DEP_1) | instskip(NEXT) | instid1(VALU_DEP_1)
	v_fmac_f32_e32 v0, v5, v1
	v_fmac_f32_e32 v0, v6, v2
	scratch_store_b32 off, v0, off offset:3552 ; 4-byte Folded Spill
	s_wait_xcnt 0x0
	v_pk_fma_f32 v[0:1], v[6:7], v[82:83], v[64:65] op_sel_hi:[0,1,1]
	s_clause 0x1
	scratch_store_b64 off, v[0:1], off offset:3556
	scratch_load_b128 v[0:3], off, off offset:2816
	s_wait_loadcnt 0x0
	v_fma_f32 v0, v4, v0, v3
	s_delay_alu instid0(VALU_DEP_1) | instskip(NEXT) | instid1(VALU_DEP_1)
	v_fmac_f32_e32 v0, v5, v1
	v_fmac_f32_e32 v0, v6, v2
	scratch_store_b32 off, v0, off offset:3564 ; 4-byte Folded Spill
	s_wait_xcnt 0x0
	v_pk_fma_f32 v[0:1], v[6:7], v[48:49], v[46:47] op_sel_hi:[0,1,1]
	s_clause 0x1
	scratch_store_b64 off, v[0:1], off offset:3568
	scratch_load_b128 v[0:3], off, off offset:2864
	s_wait_loadcnt 0x0
	v_fma_f32 v0, v4, v0, v3
	s_delay_alu instid0(VALU_DEP_1) | instskip(NEXT) | instid1(VALU_DEP_1)
	v_fmac_f32_e32 v0, v5, v1
	v_fmac_f32_e32 v0, v6, v2
	scratch_store_b32 off, v0, off offset:3576 ; 4-byte Folded Spill
	s_wait_xcnt 0x0
	v_pk_fma_f32 v[0:1], v[6:7], v[90:91], v[68:69] op_sel_hi:[0,1,1]
	s_clause 0x3
	scratch_store_b64 off, v[0:1], off offset:3580
	scratch_load_b128 v[0:3], off, off offset:2896
	scratch_load_b128 v[8:11], off, off offset:2928
	scratch_load_b128 v[12:15], off, off offset:2944
	s_wait_loadcnt 0x1
	v_dual_mov_b32 v16, v0 :: v_dual_mov_b32 v17, v8
	v_dual_mov_b32 v18, v3 :: v_dual_mov_b32 v19, v11
	v_dual_mov_b32 v8, v1 :: v_dual_mov_b32 v3, v10
	s_delay_alu instid0(VALU_DEP_2) | instskip(NEXT) | instid1(VALU_DEP_1)
	v_pk_fma_f32 v[16:17], v[4:5], v[16:17], v[18:19] op_sel_hi:[0,1,1]
	v_pk_fma_f32 v[0:1], v[4:5], v[8:9], v[16:17] op_sel:[1,0,0]
	scratch_load_b128 v[8:11], off, off offset:2912
	v_pk_fma_f32 v[0:1], v[6:7], v[2:3], v[0:1] op_sel_hi:[0,1,1]
	s_clause 0x1
	scratch_store_b64 off, v[0:1], off offset:3592
	scratch_load_b128 v[0:3], off, off offset:2976
	s_wait_loadcnt 0x1
	v_fma_f32 v8, v4, v8, v11
	s_delay_alu instid0(VALU_DEP_1) | instskip(SKIP_1) | instid1(VALU_DEP_1)
	v_fmac_f32_e32 v8, v5, v9
	s_wait_loadcnt 0x0
	v_dual_fmac_f32 v8, v6, v10 :: v_dual_mov_b32 v9, v0
	v_dual_mov_b32 v10, v15 :: v_dual_mov_b32 v11, v3
	v_mov_b32_e32 v0, v13
	scratch_store_b32 off, v8, off offset:3588 ; 4-byte Folded Spill
	s_wait_xcnt 0x0
	v_dual_mov_b32 v8, v12 :: v_dual_mov_b32 v15, v2
	s_delay_alu instid0(VALU_DEP_1) | instskip(NEXT) | instid1(VALU_DEP_1)
	v_pk_fma_f32 v[8:9], v[4:5], v[8:9], v[10:11] op_sel_hi:[0,1,1]
	v_pk_fma_f32 v[8:9], v[4:5], v[0:1], v[8:9] op_sel:[1,0,0]
	scratch_load_b128 v[0:3], off, off offset:2960
	s_wait_loadcnt 0x0
	v_fma_f32 v0, v4, v0, v3
	s_delay_alu instid0(VALU_DEP_1) | instskip(NEXT) | instid1(VALU_DEP_1)
	v_fmac_f32_e32 v0, v5, v1
	v_fmac_f32_e32 v0, v6, v2
	scratch_store_b32 off, v0, off offset:3600 ; 4-byte Folded Spill
	s_wait_xcnt 0x0
	v_pk_fma_f32 v[0:1], v[6:7], v[14:15], v[8:9] op_sel_hi:[0,1,1]
	s_clause 0x3
	scratch_store_b64 off, v[0:1], off offset:3604
	scratch_load_b128 v[0:3], off, off offset:2992
	scratch_load_b128 v[8:11], off, off offset:3024
	scratch_load_b128 v[12:15], off, off offset:3040
	s_wait_loadcnt 0x1
	v_dual_mov_b32 v16, v0 :: v_dual_mov_b32 v17, v8
	v_dual_mov_b32 v18, v3 :: v_dual_mov_b32 v19, v11
	v_dual_mov_b32 v8, v1 :: v_dual_mov_b32 v3, v10
	s_delay_alu instid0(VALU_DEP_2) | instskip(NEXT) | instid1(VALU_DEP_1)
	v_pk_fma_f32 v[16:17], v[4:5], v[16:17], v[18:19] op_sel_hi:[0,1,1]
	v_pk_fma_f32 v[0:1], v[4:5], v[8:9], v[16:17] op_sel:[1,0,0]
	scratch_load_b128 v[8:11], off, off offset:3008
	v_pk_fma_f32 v[0:1], v[6:7], v[2:3], v[0:1] op_sel_hi:[0,1,1]
	s_clause 0x1
	scratch_store_b64 off, v[0:1], off offset:3616
	scratch_load_b128 v[0:3], off, off offset:3072
	s_wait_loadcnt 0x1
	v_fma_f32 v8, v4, v8, v11
	s_delay_alu instid0(VALU_DEP_1) | instskip(SKIP_1) | instid1(VALU_DEP_1)
	v_fmac_f32_e32 v8, v5, v9
	s_wait_loadcnt 0x0
	v_dual_fmac_f32 v8, v6, v10 :: v_dual_mov_b32 v9, v0
	v_dual_mov_b32 v10, v15 :: v_dual_mov_b32 v11, v3
	v_mov_b32_e32 v0, v13
	scratch_store_b32 off, v8, off offset:3612 ; 4-byte Folded Spill
	s_wait_xcnt 0x0
	v_dual_mov_b32 v8, v12 :: v_dual_mov_b32 v15, v2
	s_delay_alu instid0(VALU_DEP_1) | instskip(NEXT) | instid1(VALU_DEP_1)
	v_pk_fma_f32 v[8:9], v[4:5], v[8:9], v[10:11] op_sel_hi:[0,1,1]
	v_pk_fma_f32 v[8:9], v[4:5], v[0:1], v[8:9] op_sel:[1,0,0]
	scratch_load_b128 v[0:3], off, off offset:3056
	s_wait_loadcnt 0x0
	;; [unrolled: 40-line block ×4, first 2 shown]
	v_fma_f32 v0, v4, v0, v3
	s_delay_alu instid0(VALU_DEP_1) | instskip(NEXT) | instid1(VALU_DEP_1)
	v_fmac_f32_e32 v0, v5, v1
	v_fmac_f32_e32 v0, v6, v2
	scratch_store_b32 off, v0, off offset:3672 ; 4-byte Folded Spill
	s_wait_xcnt 0x0
	v_pk_fma_f32 v[0:1], v[6:7], v[14:15], v[8:9] op_sel_hi:[0,1,1]
	s_clause 0x2
	scratch_load_b128 v[8:11], off, off offset:3312
	scratch_store_b64 off, v[0:1], off offset:3676
	scratch_load_b128 v[0:3], off, off offset:3280
	s_wait_loadcnt 0x1
	v_dual_mov_b32 v13, v8 :: v_dual_mov_b32 v15, v11
	s_wait_loadcnt 0x0
	v_dual_mov_b32 v12, v0 :: v_dual_mov_b32 v14, v3
	v_dual_mov_b32 v8, v1 :: v_dual_mov_b32 v3, v10
	s_delay_alu instid0(VALU_DEP_2) | instskip(NEXT) | instid1(VALU_DEP_1)
	v_pk_fma_f32 v[12:13], v[4:5], v[12:13], v[14:15] op_sel_hi:[0,1,1]
	v_pk_fma_f32 v[0:1], v[4:5], v[8:9], v[12:13] op_sel:[1,0,0]
	scratch_load_b128 v[8:11], off, off offset:3296
	v_pk_fma_f32 v[0:1], v[6:7], v[2:3], v[0:1] op_sel_hi:[0,1,1]
	scratch_store_b64 off, v[0:1], off offset:3688 ; 8-byte Folded Spill
	s_wait_loadcnt 0x0
	v_fma_f32 v8, v4, v8, v11
	s_delay_alu instid0(VALU_DEP_1) | instskip(NEXT) | instid1(VALU_DEP_1)
	v_fmac_f32_e32 v8, v5, v9
	v_fmac_f32_e32 v8, v6, v10
	s_clause 0x2
	scratch_store_b32 off, v8, off offset:3684
	scratch_load_b32 v0, off, off offset:6024
	scratch_load_b32 v1, off, off offset:6028
	s_wait_loadcnt 0x0
	v_fma_f32 v80, v4, v1, v0
	scratch_load_b64 v[0:1], off, off offset:1860
	s_wait_loadcnt 0x0
	v_fmac_f32_e32 v80, v5, v0
	s_delay_alu instid0(VALU_DEP_1) | instskip(SKIP_3) | instid1(VALU_DEP_1)
	v_fmac_f32_e32 v80, v6, v1
	scratch_load_b128 v[0:3], off, off offset:3912 ; 16-byte Folded Reload
	s_wait_loadcnt 0x0
	v_fma_f32 v109, v4, v0, v3
	v_fmac_f32_e32 v109, v5, v1
	s_delay_alu instid0(VALU_DEP_1)
	v_fmac_f32_e32 v109, v6, v2
	s_clause 0x3
	scratch_load_b64 v[0:1], off, off offset:4424
	scratch_load_b64 v[2:3], off, off offset:4432
	scratch_load_b128 v[8:11], off, off offset:3944
	scratch_load_b128 v[12:15], off, off offset:3960
	s_wait_loadcnt 0x2
	v_pk_fma_f32 v[0:1], v[4:5], v[2:3], v[0:1] op_sel_hi:[0,1,1]
	s_wait_loadcnt 0x0
	v_fma_f32 v111, v4, v12, v15
	s_delay_alu instid0(VALU_DEP_2)
	v_pk_fma_f32 v[0:1], v[4:5], v[8:9], v[0:1] op_sel:[1,0,0]
	s_clause 0x1
	scratch_load_b64 v[2:3], off, off offset:4408
	scratch_load_b64 v[8:9], off, off offset:4416
	v_fmac_f32_e32 v111, v5, v13
	scratch_load_b128 v[18:21], off, off offset:4008 ; 16-byte Folded Reload
	v_fmac_f32_e32 v111, v6, v14
	s_wait_loadcnt 0x1
	v_pk_fma_f32 v[2:3], v[4:5], v[8:9], v[2:3] op_sel_hi:[0,1,1]
	scratch_load_b128 v[8:11], off, off offset:3992 ; 16-byte Folded Reload
	s_wait_loadcnt 0x1
	v_fma_f32 v18, v4, v18, v21
	s_delay_alu instid0(VALU_DEP_1) | instskip(NEXT) | instid1(VALU_DEP_1)
	v_fmac_f32_e32 v18, v5, v19
	v_fmac_f32_e32 v18, v6, v20
	s_wait_loadcnt 0x0
	v_pk_fma_f32 v[2:3], v[4:5], v[8:9], v[2:3] op_sel:[1,0,0]
	s_clause 0x1
	scratch_load_b64 v[8:9], off, off offset:4392
	scratch_load_b64 v[10:11], off, off offset:4400
	s_wait_loadcnt 0x0
	v_pk_fma_f32 v[8:9], v[4:5], v[10:11], v[8:9] op_sel_hi:[0,1,1]
	scratch_load_b128 v[10:13], off, off offset:4040 ; 16-byte Folded Reload
	s_wait_loadcnt 0x0
	v_pk_fma_f32 v[8:9], v[4:5], v[10:11], v[8:9] op_sel:[1,0,0]
	scratch_load_b128 v[10:13], off, off offset:3928 ; 16-byte Folded Reload
	s_wait_loadcnt 0x0
	v_pk_fma_f32 v[0:1], v[6:7], v[12:13], v[0:1] op_sel_hi:[0,1,1]
	s_clause 0x1
	scratch_load_b128 v[10:13], off, off offset:3976
	scratch_store_b64 off, v[0:1], off offset:3696
	s_wait_loadcnt 0x0
	s_wait_xcnt 0x0
	v_pk_fma_f32 v[0:1], v[6:7], v[12:13], v[2:3] op_sel_hi:[0,1,1]
	s_clause 0x1
	scratch_store_b64 off, v[0:1], off offset:3704
	scratch_load_b128 v[0:3], off, off offset:4024
	s_wait_loadcnt 0x0
	v_pk_fma_f32 v[0:1], v[6:7], v[2:3], v[8:9] op_sel_hi:[0,1,1]
	s_clause 0x4
	scratch_load_b128 v[8:11], off, off offset:4056
	scratch_store_b64 off, v[0:1], off offset:3712
	scratch_load_b64 v[0:1], off, off offset:4376
	scratch_load_b64 v[2:3], off, off offset:4384
	scratch_load_b128 v[12:15], off, off offset:4088
	s_wait_loadcnt 0x3
	v_fma_f32 v19, v4, v8, v11
	s_wait_loadcnt 0x1
	v_pk_fma_f32 v[0:1], v[4:5], v[2:3], v[0:1] op_sel_hi:[0,1,1]
	s_delay_alu instid0(VALU_DEP_2) | instskip(SKIP_1) | instid1(VALU_DEP_2)
	v_fmac_f32_e32 v19, v5, v9
	s_wait_loadcnt 0x0
	v_pk_fma_f32 v[0:1], v[4:5], v[12:13], v[0:1] op_sel:[1,0,0]
	s_clause 0x3
	scratch_load_b128 v[12:15], off, off offset:4104
	scratch_load_b64 v[2:3], off, off offset:4360
	scratch_load_b64 v[8:9], off, off offset:4368
	scratch_load_b128 v[20:23], off, off offset:4136
	v_fmac_f32_e32 v19, v6, v10
	s_wait_loadcnt 0x3
	v_fma_f32 v104, v4, v12, v15
	s_wait_loadcnt 0x1
	v_pk_fma_f32 v[2:3], v[4:5], v[8:9], v[2:3] op_sel_hi:[0,1,1]
	scratch_load_b128 v[8:11], off, off offset:4072 ; 16-byte Folded Reload
	v_fmac_f32_e32 v104, v5, v13
	s_wait_loadcnt 0x1
	v_pk_fma_f32 v[2:3], v[4:5], v[20:21], v[2:3] op_sel:[1,0,0]
	scratch_load_b128 v[20:23], off, off offset:4152 ; 16-byte Folded Reload
	v_fmac_f32_e32 v104, v6, v14
	s_wait_loadcnt 0x1
	v_pk_fma_f32 v[0:1], v[6:7], v[10:11], v[0:1] op_sel_hi:[0,1,1]
	s_clause 0x1
	scratch_load_b128 v[8:11], off, off offset:4120
	scratch_store_b64 off, v[0:1], off offset:3720
	s_wait_loadcnt 0x1
	v_fma_f32 v105, v4, v20, v23
	s_delay_alu instid0(VALU_DEP_1) | instskip(NEXT) | instid1(VALU_DEP_1)
	v_fmac_f32_e32 v105, v5, v21
	v_fmac_f32_e32 v105, v6, v22
	s_wait_loadcnt 0x0
	s_wait_xcnt 0x0
	v_pk_fma_f32 v[0:1], v[6:7], v[10:11], v[2:3] op_sel_hi:[0,1,1]
	s_clause 0x4
	scratch_store_b64 off, v[0:1], off offset:3728
	scratch_load_b64 v[0:1], off, off offset:4344
	scratch_load_b64 v[2:3], off, off offset:4352
	scratch_load_b128 v[8:11], off, off offset:4184
	scratch_load_b128 v[12:15], off, off offset:4200
	s_wait_loadcnt 0x2
	v_pk_fma_f32 v[0:1], v[4:5], v[2:3], v[0:1] op_sel_hi:[0,1,1]
	s_wait_loadcnt 0x0
	v_fma_f32 v106, v4, v12, v15
	s_delay_alu instid0(VALU_DEP_2)
	v_pk_fma_f32 v[0:1], v[4:5], v[8:9], v[0:1] op_sel:[1,0,0]
	s_clause 0x1
	scratch_load_b64 v[2:3], off, off offset:4328
	scratch_load_b64 v[8:9], off, off offset:4336
	v_fmac_f32_e32 v106, v5, v13
	scratch_load_b128 v[20:23], off, off offset:4248 ; 16-byte Folded Reload
	s_wait_loadcnt 0x1
	v_pk_fma_f32 v[2:3], v[4:5], v[8:9], v[2:3] op_sel_hi:[0,1,1]
	scratch_load_b128 v[8:11], off, off offset:4232 ; 16-byte Folded Reload
	s_wait_loadcnt 0x1
	v_fma_f32 v107, v4, v20, v23
	s_delay_alu instid0(VALU_DEP_1)
	v_fmac_f32_e32 v107, v5, v21
	s_wait_loadcnt 0x0
	v_pk_fma_f32 v[2:3], v[4:5], v[8:9], v[2:3] op_sel:[1,0,0]
	s_clause 0x1
	scratch_load_b64 v[8:9], off, off offset:4312
	scratch_load_b64 v[10:11], off, off offset:4320
	s_wait_loadcnt 0x0
	v_pk_fma_f32 v[8:9], v[4:5], v[10:11], v[8:9] op_sel_hi:[0,1,1]
	scratch_load_b128 v[10:13], off, off offset:4280 ; 16-byte Folded Reload
	s_wait_loadcnt 0x0
	v_pk_fma_f32 v[8:9], v[4:5], v[10:11], v[8:9] op_sel:[1,0,0]
	scratch_load_b128 v[10:13], off, off offset:4168 ; 16-byte Folded Reload
	s_wait_loadcnt 0x0
	v_pk_fma_f32 v[0:1], v[6:7], v[12:13], v[0:1] op_sel_hi:[0,1,1]
	s_clause 0x1
	scratch_load_b128 v[10:13], off, off offset:4216
	scratch_store_b64 off, v[0:1], off offset:3736
	s_wait_loadcnt 0x0
	s_wait_xcnt 0x0
	v_pk_fma_f32 v[0:1], v[6:7], v[12:13], v[2:3] op_sel_hi:[0,1,1]
	s_clause 0x1
	scratch_store_b64 off, v[0:1], off offset:3744
	scratch_load_b128 v[0:3], off, off offset:4264
	s_wait_loadcnt 0x0
	v_pk_fma_f32 v[0:1], v[6:7], v[2:3], v[8:9] op_sel_hi:[0,1,1]
	scratch_load_b128 v[8:11], off, off offset:4440 ; 16-byte Folded Reload
	v_fmac_f32_e32 v106, v6, v14
	s_clause 0x3
	scratch_store_b64 off, v[0:1], off offset:3752
	scratch_load_b64 v[0:1], off, off offset:4472
	scratch_load_b64 v[2:3], off, off offset:4480
	scratch_load_b128 v[12:15], off, off offset:4456
	s_wait_loadcnt 0x3
	v_fma_f32 v88, v4, v8, v11
	s_delay_alu instid0(VALU_DEP_1) | instskip(SKIP_2) | instid1(VALU_DEP_2)
	v_dual_fmac_f32 v107, v6, v22 :: v_dual_fmac_f32 v88, v5, v9
	s_wait_loadcnt 0x1
	v_pk_fma_f32 v[0:1], v[4:5], v[0:1], v[2:3] op_sel_hi:[0,1,1]
	v_fmac_f32_e32 v88, v6, v10
	s_wait_loadcnt 0x0
	s_delay_alu instid0(VALU_DEP_2)
	v_pk_fma_f32 v[0:1], v[4:5], v[12:13], v[0:1] op_sel:[1,0,0]
	s_clause 0x3
	scratch_load_b128 v[12:15], off, off offset:4488
	scratch_load_b64 v[2:3], off, off offset:4536
	scratch_load_b64 v[8:9], off, off offset:4544
	scratch_load_b128 v[20:23], off, off offset:4520
	s_wait_loadcnt 0x1
	v_pk_fma_f32 v[2:3], v[4:5], v[2:3], v[8:9] op_sel_hi:[0,1,1]
	scratch_load_b128 v[8:11], off, off offset:4296 ; 16-byte Folded Reload
	s_wait_loadcnt 0x1
	v_pk_fma_f32 v[2:3], v[4:5], v[20:21], v[2:3] op_sel:[1,0,0]
	scratch_load_b128 v[20:23], off, off offset:4552 ; 16-byte Folded Reload
	s_wait_loadcnt 0x1
	v_pk_fma_f32 v[0:1], v[6:7], v[10:11], v[0:1] op_sel_hi:[0,1,1]
	s_clause 0x1
	scratch_load_b128 v[8:11], off, off offset:4504
	scratch_store_b64 off, v[0:1], off offset:3760
	s_wait_loadcnt 0x1
	v_fma_f32 v90, v4, v20, v23
	s_delay_alu instid0(VALU_DEP_1) | instskip(NEXT) | instid1(VALU_DEP_1)
	v_dual_fma_f32 v89, v4, v12, v15 :: v_dual_fmac_f32 v90, v5, v21
	v_dual_fmac_f32 v89, v5, v13 :: v_dual_fmac_f32 v90, v6, v22
	s_delay_alu instid0(VALU_DEP_1)
	v_fmac_f32_e32 v89, v6, v14
	s_wait_loadcnt 0x0
	s_wait_xcnt 0x0
	v_pk_fma_f32 v[0:1], v[6:7], v[10:11], v[2:3] op_sel_hi:[0,1,1]
	s_clause 0x4
	scratch_store_b64 off, v[0:1], off offset:3768
	scratch_load_b64 v[0:1], off, off offset:4600
	scratch_load_b64 v[2:3], off, off offset:4608
	scratch_load_b128 v[8:11], off, off offset:4584
	scratch_load_b128 v[12:15], off, off offset:4616
	s_wait_loadcnt 0x2
	v_pk_fma_f32 v[0:1], v[4:5], v[0:1], v[2:3] op_sel_hi:[0,1,1]
	s_wait_loadcnt 0x0
	v_fma_f32 v91, v4, v12, v15
	s_delay_alu instid0(VALU_DEP_2)
	v_pk_fma_f32 v[0:1], v[4:5], v[8:9], v[0:1] op_sel:[1,0,0]
	s_clause 0x2
	scratch_load_b64 v[2:3], off, off offset:4664
	scratch_load_b64 v[8:9], off, off offset:4672
	scratch_load_b128 v[20:23], off, off offset:4680
	s_wait_loadcnt 0x1
	v_pk_fma_f32 v[2:3], v[4:5], v[2:3], v[8:9] op_sel_hi:[0,1,1]
	scratch_load_b128 v[8:11], off, off offset:4648 ; 16-byte Folded Reload
	s_wait_loadcnt 0x1
	v_fma_f32 v44, v4, v20, v23
	s_delay_alu instid0(VALU_DEP_1) | instskip(NEXT) | instid1(VALU_DEP_1)
	v_fmac_f32_e32 v44, v5, v21
	v_dual_fmac_f32 v91, v5, v13 :: v_dual_fmac_f32 v44, v6, v22
	s_delay_alu instid0(VALU_DEP_1)
	v_fmac_f32_e32 v91, v6, v14
	s_wait_loadcnt 0x0
	v_pk_fma_f32 v[2:3], v[4:5], v[8:9], v[2:3] op_sel:[1,0,0]
	s_clause 0x1
	scratch_load_b64 v[8:9], off, off offset:4728
	scratch_load_b64 v[10:11], off, off offset:4736
	s_wait_loadcnt 0x0
	v_pk_fma_f32 v[8:9], v[4:5], v[8:9], v[10:11] op_sel_hi:[0,1,1]
	scratch_load_b128 v[10:13], off, off offset:4712 ; 16-byte Folded Reload
	s_wait_loadcnt 0x0
	v_pk_fma_f32 v[8:9], v[4:5], v[10:11], v[8:9] op_sel:[1,0,0]
	scratch_load_b128 v[10:13], off, off offset:4568 ; 16-byte Folded Reload
	s_wait_loadcnt 0x0
	v_pk_fma_f32 v[0:1], v[6:7], v[12:13], v[0:1] op_sel_hi:[0,1,1]
	s_clause 0x1
	scratch_load_b128 v[10:13], off, off offset:4632
	scratch_store_b64 off, v[0:1], off offset:3776
	s_wait_loadcnt 0x0
	s_wait_xcnt 0x0
	v_pk_fma_f32 v[0:1], v[6:7], v[12:13], v[2:3] op_sel_hi:[0,1,1]
	s_clause 0x1
	scratch_store_b64 off, v[0:1], off offset:3784
	scratch_load_b128 v[0:3], off, off offset:4696
	s_wait_loadcnt 0x0
	v_pk_fma_f32 v[0:1], v[6:7], v[2:3], v[8:9] op_sel_hi:[0,1,1]
	s_clause 0x4
	scratch_load_b128 v[8:11], off, off offset:4744
	scratch_store_b64 off, v[0:1], off offset:3792
	scratch_load_b64 v[0:1], off, off offset:4792
	scratch_load_b64 v[2:3], off, off offset:4800
	scratch_load_b128 v[12:15], off, off offset:4776
	s_wait_loadcnt 0x1
	v_pk_fma_f32 v[0:1], v[4:5], v[0:1], v[2:3] op_sel_hi:[0,1,1]
	s_wait_loadcnt 0x0
	s_delay_alu instid0(VALU_DEP_1) | instskip(SKIP_3) | instid1(VALU_DEP_1)
	v_pk_fma_f32 v[0:1], v[4:5], v[12:13], v[0:1] op_sel:[1,0,0]
	scratch_load_b128 v[12:15], off, off offset:4808 ; 16-byte Folded Reload
	s_wait_loadcnt 0x0
	v_fma_f32 v46, v4, v12, v15
	v_dual_fma_f32 v45, v4, v8, v11 :: v_dual_fmac_f32 v46, v5, v13
	s_delay_alu instid0(VALU_DEP_1)
	v_fmac_f32_e32 v45, v5, v9
	s_clause 0x2
	scratch_load_b64 v[2:3], off, off offset:4856
	scratch_load_b64 v[8:9], off, off offset:4864
	scratch_load_b128 v[20:23], off, off offset:4840
	v_fmac_f32_e32 v46, v6, v14
	v_fmac_f32_e32 v45, v6, v10
	s_wait_loadcnt 0x1
	v_pk_fma_f32 v[2:3], v[4:5], v[2:3], v[8:9] op_sel_hi:[0,1,1]
	scratch_load_b128 v[8:11], off, off offset:4760 ; 16-byte Folded Reload
	s_wait_loadcnt 0x1
	v_pk_fma_f32 v[2:3], v[4:5], v[20:21], v[2:3] op_sel:[1,0,0]
	scratch_load_b128 v[20:23], off, off offset:4872 ; 16-byte Folded Reload
	s_wait_loadcnt 0x1
	v_pk_fma_f32 v[0:1], v[6:7], v[10:11], v[0:1] op_sel_hi:[0,1,1]
	s_clause 0x1
	scratch_load_b128 v[8:11], off, off offset:4824
	scratch_store_b64 off, v[0:1], off offset:3800
	s_wait_loadcnt 0x1
	v_fma_f32 v47, v4, v20, v23
	s_wait_loadcnt 0x0
	s_wait_xcnt 0x0
	v_pk_fma_f32 v[0:1], v[6:7], v[10:11], v[2:3] op_sel_hi:[0,1,1]
	s_clause 0x4
	scratch_store_b64 off, v[0:1], off offset:3808
	scratch_load_b64 v[0:1], off, off offset:4920
	scratch_load_b64 v[2:3], off, off offset:4928
	scratch_load_b128 v[8:11], off, off offset:4904
	scratch_load_b128 v[12:15], off, off offset:4936
	s_wait_loadcnt 0x2
	v_pk_fma_f32 v[0:1], v[4:5], v[0:1], v[2:3] op_sel_hi:[0,1,1]
	s_wait_loadcnt 0x0
	v_fma_f32 v54, v4, v12, v15
	s_delay_alu instid0(VALU_DEP_2) | instskip(SKIP_4) | instid1(VALU_DEP_1)
	v_pk_fma_f32 v[0:1], v[4:5], v[8:9], v[0:1] op_sel:[1,0,0]
	s_clause 0x1
	scratch_load_b64 v[2:3], off, off offset:4984
	scratch_load_b64 v[8:9], off, off offset:4992
	v_fmac_f32_e32 v54, v5, v13
	v_dual_fmac_f32 v47, v5, v21 :: v_dual_fmac_f32 v54, v6, v14
	s_delay_alu instid0(VALU_DEP_1)
	v_fmac_f32_e32 v47, v6, v22
	scratch_load_b128 v[20:23], off, off offset:5000 ; 16-byte Folded Reload
	s_wait_loadcnt 0x1
	v_pk_fma_f32 v[2:3], v[4:5], v[2:3], v[8:9] op_sel_hi:[0,1,1]
	scratch_load_b128 v[8:11], off, off offset:4968 ; 16-byte Folded Reload
	s_wait_loadcnt 0x1
	v_fma_f32 v55, v4, v20, v23
	s_delay_alu instid0(VALU_DEP_1) | instskip(NEXT) | instid1(VALU_DEP_1)
	v_fmac_f32_e32 v55, v5, v21
	v_fmac_f32_e32 v55, v6, v22
	s_wait_loadcnt 0x0
	v_pk_fma_f32 v[2:3], v[4:5], v[8:9], v[2:3] op_sel:[1,0,0]
	s_clause 0x1
	scratch_load_b64 v[8:9], off, off offset:5048
	scratch_load_b64 v[10:11], off, off offset:5056
	s_wait_loadcnt 0x0
	v_pk_fma_f32 v[8:9], v[4:5], v[8:9], v[10:11] op_sel_hi:[0,1,1]
	scratch_load_b128 v[10:13], off, off offset:5032 ; 16-byte Folded Reload
	s_wait_loadcnt 0x0
	v_pk_fma_f32 v[8:9], v[4:5], v[10:11], v[8:9] op_sel:[1,0,0]
	scratch_load_b128 v[10:13], off, off offset:4888 ; 16-byte Folded Reload
	s_wait_loadcnt 0x0
	v_pk_fma_f32 v[0:1], v[6:7], v[12:13], v[0:1] op_sel_hi:[0,1,1]
	s_clause 0x1
	scratch_load_b128 v[10:13], off, off offset:4952
	scratch_store_b64 off, v[0:1], off offset:3816
	s_wait_loadcnt 0x0
	s_wait_xcnt 0x0
	v_pk_fma_f32 v[0:1], v[6:7], v[12:13], v[2:3] op_sel_hi:[0,1,1]
	s_clause 0x1
	scratch_store_b64 off, v[0:1], off offset:3824
	scratch_load_b128 v[0:3], off, off offset:5016
	s_wait_loadcnt 0x0
	v_pk_fma_f32 v[0:1], v[6:7], v[2:3], v[8:9] op_sel_hi:[0,1,1]
	s_clause 0x4
	scratch_load_b128 v[8:11], off, off offset:5064
	scratch_store_b64 off, v[0:1], off offset:3832
	scratch_load_b64 v[0:1], off, off offset:5112
	scratch_load_b64 v[2:3], off, off offset:5120
	scratch_load_b128 v[12:15], off, off offset:5096
	s_wait_loadcnt 0x3
	v_fma_f32 v82, v4, v8, v11
	s_wait_loadcnt 0x1
	v_pk_fma_f32 v[0:1], v[4:5], v[0:1], v[2:3] op_sel_hi:[0,1,1]
	s_delay_alu instid0(VALU_DEP_2) | instskip(SKIP_1) | instid1(VALU_DEP_2)
	v_fmac_f32_e32 v82, v5, v9
	s_wait_loadcnt 0x0
	v_pk_fma_f32 v[2:3], v[4:5], v[12:13], v[0:1] op_sel:[1,0,0]
	s_clause 0x3
	scratch_load_b128 v[12:15], off, off offset:5128
	scratch_load_b64 v[0:1], off, off offset:5176
	scratch_load_b64 v[8:9], off, off offset:5184
	scratch_load_b128 v[20:23], off, off offset:5160
	s_wait_loadcnt 0x3
	v_dual_fmac_f32 v82, v6, v10 :: v_dual_fma_f32 v83, v4, v12, v15
	s_wait_loadcnt 0x1
	v_pk_fma_f32 v[0:1], v[4:5], v[0:1], v[8:9] op_sel_hi:[0,1,1]
	s_delay_alu instid0(VALU_DEP_2)
	v_fmac_f32_e32 v83, v5, v13
	scratch_load_b128 v[10:13], off, off offset:5080 ; 16-byte Folded Reload
	s_wait_loadcnt 0x1
	v_pk_fma_f32 v[8:9], v[4:5], v[20:21], v[0:1] op_sel:[1,0,0]
	scratch_load_b128 v[20:23], off, off offset:5192 ; 16-byte Folded Reload
	s_wait_loadcnt 0x1
	v_pk_fma_f32 v[2:3], v[6:7], v[12:13], v[2:3] op_sel_hi:[0,1,1]
	scratch_load_b128 v[10:13], off, off offset:5144 ; 16-byte Folded Reload
	s_wait_loadcnt 0x1
	v_fma_f32 v0, v4, v20, v23
	scratch_store_b64 off, v[2:3], off offset:3840 ; 8-byte Folded Spill
	v_fmac_f32_e32 v0, v5, v21
	s_delay_alu instid0(VALU_DEP_1)
	v_fmac_f32_e32 v0, v6, v22
	s_wait_loadcnt 0x0
	s_wait_xcnt 0x0
	v_pk_fma_f32 v[2:3], v[6:7], v[12:13], v[8:9] op_sel_hi:[0,1,1]
	s_clause 0x3
	scratch_store_b64 off, v[2:3], off offset:3848
	scratch_load_b64 v[2:3], off, off offset:5240
	scratch_load_b64 v[8:9], off, off offset:5248
	scratch_load_b128 v[20:23], off, off offset:5256
	s_wait_loadcnt 0x1
	v_pk_fma_f32 v[2:3], v[4:5], v[2:3], v[8:9] op_sel_hi:[0,1,1]
	scratch_load_b128 v[8:11], off, off offset:5224 ; 16-byte Folded Reload
	s_wait_loadcnt 0x1
	v_fma_f32 v1, v4, v20, v23
	s_delay_alu instid0(VALU_DEP_1) | instskip(NEXT) | instid1(VALU_DEP_1)
	v_fmac_f32_e32 v1, v5, v21
	v_fmac_f32_e32 v1, v6, v22
	s_wait_loadcnt 0x0
	v_pk_fma_f32 v[8:9], v[4:5], v[8:9], v[2:3] op_sel:[1,0,0]
	s_clause 0x2
	scratch_load_b64 v[2:3], off, off offset:5304
	scratch_load_b64 v[10:11], off, off offset:5312
	scratch_load_b128 v[24:27], off, off offset:5320
	s_wait_loadcnt 0x1
	v_pk_fma_f32 v[2:3], v[4:5], v[2:3], v[10:11] op_sel_hi:[0,1,1]
	scratch_load_b128 v[10:13], off, off offset:5288 ; 16-byte Folded Reload
	s_wait_loadcnt 0x0
	v_pk_fma_f32 v[10:11], v[4:5], v[10:11], v[2:3] op_sel:[1,0,0]
	v_fma_f32 v2, v4, v24, v27
	v_fmac_f32_e32 v83, v6, v14
	s_clause 0x1
	scratch_load_b64 v[12:13], off, off offset:5368
	scratch_load_b64 v[14:15], off, off offset:5376
	v_fmac_f32_e32 v2, v5, v25
	s_wait_loadcnt 0x0
	v_pk_fma_f32 v[12:13], v[4:5], v[12:13], v[14:15] op_sel_hi:[0,1,1]
	scratch_load_b128 v[14:17], off, off offset:5352 ; 16-byte Folded Reload
	s_wait_loadcnt 0x0
	v_pk_fma_f32 v[12:13], v[4:5], v[14:15], v[12:13] op_sel:[1,0,0]
	scratch_load_b128 v[14:17], off, off offset:5208 ; 16-byte Folded Reload
	s_wait_loadcnt 0x0
	v_pk_fma_f32 v[8:9], v[6:7], v[16:17], v[8:9] op_sel_hi:[0,1,1]
	s_clause 0x1
	scratch_load_b128 v[14:17], off, off offset:5272
	scratch_store_b64 off, v[8:9], off offset:3856
	s_wait_loadcnt 0x0
	s_wait_xcnt 0x0
	v_pk_fma_f32 v[8:9], v[6:7], v[16:17], v[10:11] op_sel_hi:[0,1,1]
	s_clause 0x1
	scratch_store_b64 off, v[8:9], off offset:3864
	scratch_load_b128 v[8:11], off, off offset:5336
	s_wait_loadcnt 0x0
	v_pk_fma_f32 v[8:9], v[6:7], v[10:11], v[12:13] op_sel_hi:[0,1,1]
	scratch_load_b128 v[12:15], off, off offset:5384 ; 16-byte Folded Reload
	v_fmac_f32_e32 v2, v6, v26
	s_clause 0x3
	scratch_store_b64 off, v[8:9], off offset:3872
	scratch_load_b64 v[8:9], off, off offset:5432
	scratch_load_b64 v[10:11], off, off offset:5440
	scratch_load_b128 v[20:23], off, off offset:5448
	s_wait_loadcnt 0x3
	v_fma_f32 v3, v4, v12, v15
	s_delay_alu instid0(VALU_DEP_1)
	v_fmac_f32_e32 v3, v5, v13
	s_wait_loadcnt 0x1
	v_pk_fma_f32 v[8:9], v[4:5], v[8:9], v[10:11] op_sel_hi:[0,1,1]
	scratch_load_b128 v[10:13], off, off offset:5416 ; 16-byte Folded Reload
	s_wait_loadcnt 0x0
	s_clause 0x2
	scratch_load_b64 v[12:13], off, off offset:5496
	scratch_load_b64 v[16:17], off, off offset:5504
	scratch_load_b128 v[24:27], off, off offset:5480
	v_pk_fma_f32 v[8:9], v[4:5], v[10:11], v[8:9] op_sel:[1,0,0]
	v_fma_f32 v10, v4, v20, v23
	s_wait_loadcnt 0x1
	v_pk_fma_f32 v[12:13], v[4:5], v[12:13], v[16:17] op_sel_hi:[0,1,1]
	s_delay_alu instid0(VALU_DEP_2) | instskip(NEXT) | instid1(VALU_DEP_1)
	v_fmac_f32_e32 v10, v5, v21
	v_fmac_f32_e32 v10, v6, v22
	;; [unrolled: 1-line block ×3, first 2 shown]
	scratch_load_b128 v[14:17], off, off offset:5400 ; 16-byte Folded Reload
	s_wait_loadcnt 0x1
	v_pk_fma_f32 v[12:13], v[4:5], v[24:25], v[12:13] op_sel:[1,0,0]
	scratch_load_b128 v[24:27], off, off offset:5512 ; 16-byte Folded Reload
	s_wait_loadcnt 0x1
	v_pk_fma_f32 v[8:9], v[6:7], v[16:17], v[8:9] op_sel_hi:[0,1,1]
	scratch_load_b128 v[14:17], off, off offset:5464 ; 16-byte Folded Reload
	s_wait_loadcnt 0x1
	v_fma_f32 v11, v4, v24, v27
	scratch_store_b64 off, v[8:9], off offset:3880 ; 8-byte Folded Spill
	v_fmac_f32_e32 v11, v5, v25
	s_wait_loadcnt 0x0
	s_wait_xcnt 0x0
	v_pk_fma_f32 v[8:9], v[6:7], v[16:17], v[12:13] op_sel_hi:[0,1,1]
	s_clause 0x3
	scratch_store_b64 off, v[8:9], off offset:3888
	scratch_load_b64 v[8:9], off, off offset:5560
	scratch_load_b64 v[12:13], off, off offset:5568
	scratch_load_b128 v[22:25], off, off offset:5576
	s_wait_loadcnt 0x1
	v_pk_fma_f32 v[8:9], v[4:5], v[8:9], v[12:13] op_sel_hi:[0,1,1]
	scratch_load_b128 v[12:15], off, off offset:5544 ; 16-byte Folded Reload
	s_wait_loadcnt 0x0
	s_clause 0x1
	scratch_load_b64 v[14:15], off, off offset:5624
	scratch_load_b64 v[16:17], off, off offset:5632
	v_pk_fma_f32 v[8:9], v[4:5], v[12:13], v[8:9] op_sel:[1,0,0]
	v_fma_f32 v12, v4, v22, v25
	s_wait_loadcnt 0x0
	v_pk_fma_f32 v[14:15], v[4:5], v[14:15], v[16:17] op_sel_hi:[0,1,1]
	s_delay_alu instid0(VALU_DEP_2)
	v_fmac_f32_e32 v12, v5, v23
	scratch_load_b128 v[20:23], off, off offset:5608 ; 16-byte Folded Reload
	v_fmac_f32_e32 v11, v6, v26
	scratch_load_b128 v[26:29], off, off offset:5640 ; 16-byte Folded Reload
	s_wait_loadcnt 0x1
	v_pk_fma_f32 v[14:15], v[4:5], v[20:21], v[14:15] op_sel:[1,0,0]
	s_clause 0x1
	scratch_load_b64 v[16:17], off, off offset:5688
	scratch_load_b64 v[20:21], off, off offset:5696
	s_wait_loadcnt 0x2
	v_fma_f32 v13, v4, v26, v29
	s_delay_alu instid0(VALU_DEP_1)
	v_fmac_f32_e32 v13, v5, v27
	s_wait_loadcnt 0x0
	v_pk_fma_f32 v[16:17], v[4:5], v[16:17], v[20:21] op_sel_hi:[0,1,1]
	scratch_load_b128 v[20:23], off, off offset:5672 ; 16-byte Folded Reload
	s_wait_loadcnt 0x0
	v_pk_fma_f32 v[16:17], v[4:5], v[20:21], v[16:17] op_sel:[1,0,0]
	scratch_load_b128 v[20:23], off, off offset:5528 ; 16-byte Folded Reload
	s_wait_loadcnt 0x0
	v_pk_fma_f32 v[8:9], v[6:7], v[22:23], v[8:9] op_sel_hi:[0,1,1]
	s_clause 0x1
	scratch_load_b128 v[20:23], off, off offset:5592
	scratch_store_b64 off, v[8:9], off offset:3896
	s_wait_loadcnt 0x0
	s_wait_xcnt 0x0
	v_pk_fma_f32 v[8:9], v[6:7], v[22:23], v[14:15] op_sel_hi:[0,1,1]
	s_clause 0x1
	scratch_load_b128 v[20:23], off, off offset:5656
	scratch_store_b64 off, v[8:9], off offset:3904
	s_wait_loadcnt 0x0
	v_pk_fma_f32 v[96:97], v[6:7], v[22:23], v[16:17] op_sel_hi:[0,1,1]
	scratch_load_b128 v[14:17], off, off offset:5704 ; 16-byte Folded Reload
	s_wait_loadcnt 0x0
	v_dual_fmac_f32 v12, v6, v24 :: v_dual_fma_f32 v24, v4, v14, v17
	s_delay_alu instid0(VALU_DEP_1)
	v_dual_fmac_f32 v13, v6, v28 :: v_dual_fmac_f32 v24, v5, v15
	s_clause 0x3
	scratch_load_b64 v[8:9], off, off offset:5752
	scratch_load_b64 v[14:15], off, off offset:5760
	scratch_load_b128 v[20:23], off, off offset:5736
	scratch_load_b128 v[26:29], off, off offset:5768
	v_fmac_f32_e32 v24, v6, v16
	s_wait_loadcnt 0x2
	v_pk_fma_f32 v[8:9], v[4:5], v[8:9], v[14:15] op_sel_hi:[0,1,1]
	s_wait_loadcnt 0x1
	s_delay_alu instid0(VALU_DEP_1)
	v_pk_fma_f32 v[8:9], v[4:5], v[20:21], v[8:9] op_sel:[1,0,0]
	s_clause 0x2
	scratch_load_b64 v[14:15], off, off offset:5816
	scratch_load_b64 v[20:21], off, off offset:5824
	scratch_load_b128 v[30:33], off, off offset:5832
	s_wait_loadcnt 0x1
	v_pk_fma_f32 v[14:15], v[4:5], v[14:15], v[20:21] op_sel_hi:[0,1,1]
	scratch_load_b128 v[20:23], off, off offset:5800 ; 16-byte Folded Reload
	s_wait_loadcnt 0x0
	v_pk_fma_f32 v[14:15], v[4:5], v[20:21], v[14:15] op_sel:[1,0,0]
	scratch_load_b128 v[20:23], off, off offset:5720 ; 16-byte Folded Reload
	v_fma_f32 v25, v4, v26, v29
	v_fma_f32 v26, v4, v30, v33
	s_delay_alu instid0(VALU_DEP_1) | instskip(NEXT) | instid1(VALU_DEP_1)
	v_fmac_f32_e32 v26, v5, v31
	v_dual_fmac_f32 v25, v5, v27 :: v_dual_fmac_f32 v26, v6, v32
	s_delay_alu instid0(VALU_DEP_1)
	v_fmac_f32_e32 v25, v6, v28
	s_wait_loadcnt 0x0
	v_pk_fma_f32 v[102:103], v[6:7], v[22:23], v[8:9] op_sel_hi:[0,1,1]
	scratch_load_b128 v[20:23], off, off offset:5784 ; 16-byte Folded Reload
	s_wait_loadcnt 0x0
	v_pk_fma_f32 v[8:9], v[6:7], v[22:23], v[14:15] op_sel_hi:[0,1,1]
	s_clause 0x3
	scratch_load_b64 v[14:15], off, off offset:5880
	scratch_load_b64 v[16:17], off, off offset:5888
	scratch_load_b128 v[20:23], off, off offset:5864
	scratch_load_b128 v[28:31], off, off offset:5896
	s_wait_loadcnt 0x2
	v_pk_fma_f32 v[14:15], v[4:5], v[14:15], v[16:17] op_sel_hi:[0,1,1]
	s_wait_loadcnt 0x0
	v_fma_f32 v27, v4, v28, v31
	s_delay_alu instid0(VALU_DEP_2)
	v_pk_fma_f32 v[14:15], v[4:5], v[20:21], v[14:15] op_sel:[1,0,0]
	s_clause 0x1
	scratch_load_b64 v[16:17], off, off offset:5944
	scratch_load_b64 v[20:21], off, off offset:5952
	v_fmac_f32_e32 v27, v5, v29
	scratch_load_b128 v[32:35], off, off offset:5960 ; 16-byte Folded Reload
	v_fmac_f32_e32 v27, v6, v30
	s_wait_loadcnt 0x1
	v_pk_fma_f32 v[16:17], v[4:5], v[16:17], v[20:21] op_sel_hi:[0,1,1]
	scratch_load_b128 v[20:23], off, off offset:5928 ; 16-byte Folded Reload
	s_wait_loadcnt 0x1
	v_fma_f32 v36, v4, v32, v35
	s_delay_alu instid0(VALU_DEP_1) | instskip(NEXT) | instid1(VALU_DEP_1)
	v_fmac_f32_e32 v36, v5, v33
	v_fmac_f32_e32 v36, v6, v34
	s_wait_loadcnt 0x0
	v_pk_fma_f32 v[16:17], v[4:5], v[20:21], v[16:17] op_sel:[1,0,0]
	s_clause 0x2
	scratch_load_b64 v[20:21], off, off offset:6008
	scratch_load_b64 v[22:23], off, off offset:6016
	scratch_load_b128 v[38:41], off, off offset:5992
	global_load_b128 v[98:101], v7, s[6:7] scale_offset
	s_wait_loadcnt 0x2
	v_pk_fma_f32 v[20:21], v[4:5], v[20:21], v[22:23] op_sel_hi:[0,1,1]
	s_wait_loadcnt 0x0
	v_readfirstlane_b32 s20, v100
	v_readfirstlane_b32 s0, v98
	s_delay_alu instid0(VALU_DEP_3)
	v_pk_fma_f32 v[4:5], v[4:5], v[38:39], v[20:21] op_sel:[1,0,0]
	scratch_load_b128 v[20:23], off, off offset:5848 ; 16-byte Folded Reload
	s_cmp_gt_f32 s20, 0
	s_cselect_b32 s21, -1, 0
	s_cmp_eq_u32 s0, 0x46
	s_cselect_b32 s22, -1, 0
	s_cmp_eq_u32 s0, 0x45
	s_cselect_b32 s23, -1, 0
	s_cmp_lt_f32 s20, 0
	s_cselect_b32 s24, -1, 0
	s_delay_alu instid0(SALU_CYCLE_1)
	s_and_b32 s0, s24, exec_lo
	s_cselect_b32 s25, 0x40b00000, 1.0
	s_cselect_b32 s27, 1.0, 0xff7fffff
	s_xor_b32 s28, s20, 0x80000000
	s_wait_loadcnt 0x0
	v_pk_fma_f32 v[38:39], v[6:7], v[22:23], v[14:15] op_sel_hi:[0,1,1]
	scratch_load_b128 v[20:23], off, off offset:5912 ; 16-byte Folded Reload
	s_wait_loadcnt 0x0
	v_pk_fma_f32 v[56:57], v[6:7], v[22:23], v[16:17] op_sel_hi:[0,1,1]
	scratch_load_b128 v[14:17], off, off offset:5976 ; 16-byte Folded Reload
	s_wait_loadcnt 0x0
	v_pk_fma_f32 v[58:59], v[6:7], v[16:17], v[4:5] op_sel_hi:[0,1,1]
	s_clause 0xf
	scratch_load_b128 v[84:87], off, off
	scratch_load_b128 v[72:75], off, off offset:16
	scratch_load_b128 v[60:63], off, off offset:32
	;; [unrolled: 1-line block ×15, first 2 shown]
.LBB6_28:                               ;   Parent Loop BB6_27 Depth=1
                                        ; =>  This Inner Loop Header: Depth=2
	v_mov_b32_e32 v14, 0
	global_load_b128 v[116:119], v14, s[14:15] offset:-8
	s_wait_xcnt 0x0
	s_add_nc_u64 s[14:15], s[14:15], 16
	s_wait_loadcnt 0x0
	global_load_b128 v[14:17], v119, s[6:7] scale_offset
	s_wait_loadcnt 0x0
	v_add_f32_e32 v110, v99, v15
	v_readfirstlane_b32 s0, v14
	v_readfirstlane_b32 s1, v16
	v_dual_mul_f32 v100, v101, v17 :: v_dual_mov_b32 v17, v118
	s_delay_alu instid0(VALU_DEP_4)
	v_div_scale_f32 v14, null, v110, v110, 1.0
	s_cmp_eq_u32 s0, 0x46
	s_cselect_b32 s3, -1, 0
	v_xor_b32_e32 v15, 0x80000000, v14
	v_rcp_f32_e32 v14, v14
	s_and_b32 s3, s3, s22
	s_delay_alu instid0(SALU_CYCLE_1)
	s_and_b32 s3, s3, exec_lo
	s_cselect_b32 s34, 4.0, 2.0
	s_cselect_b32 s18, 0x3e800000, 0.5
	s_cmp_eq_u32 s0, 0x45
	v_nop
	v_fma_f32 v16, v15, v14, 1.0
	s_cselect_b32 s0, -1, 0
	s_delay_alu instid0(SALU_CYCLE_1) | instskip(SKIP_1) | instid1(VALU_DEP_1)
	s_or_b32 s33, s0, s23
	s_cmp_gt_f32 s1, 0
	v_fmac_f32_e32 v14, v16, v14
	v_div_scale_f32 v16, vcc_lo, 1.0, v110, 1.0
	s_cselect_b32 s0, -1, 0
	s_cmp_neq_f32 s1, 0
	v_mul_f32_e32 v37, v16, v14
	s_cselect_b32 s30, -1, 0
	s_cmp_lt_f32 s1, 0
	s_delay_alu instid0(VALU_DEP_1) | instskip(SKIP_1) | instid1(SALU_CYCLE_1)
	v_fma_f32 v52, v15, v37, v16
	s_cselect_b32 s3, -1, 0
	s_and_b32 s16, s3, exec_lo
	s_delay_alu instid0(VALU_DEP_1)
	v_fmac_f32_e32 v37, v52, v14
	s_cselect_b32 s31, s25, s27
	s_and_b32 s3, s3, s21
	s_xor_b32 s16, s1, 0x80000000
	s_and_b32 s3, s3, exec_lo
	v_fmac_f32_e32 v16, v15, v37
	s_cselect_b32 s1, s16, s1
	s_and_b32 s0, s0, s24
	s_delay_alu instid0(SALU_CYCLE_1) | instskip(NEXT) | instid1(VALU_DEP_1)
	s_and_b32 s0, s0, exec_lo
	v_div_fmas_f32 v14, v16, v14, v37
	s_cselect_b32 s0, s28, s20
	s_add_co_i32 s29, s29, -1
	s_add_f32 s16, s1, s0
	s_delay_alu instid0(VALU_DEP_1) | instskip(SKIP_1) | instid1(VALU_DEP_1)
	v_div_fixup_f32 v108, v14, v110, 1.0
	v_div_scale_f32 v14, null, s31, s31, 1.0
	v_xor_b32_e32 v15, 0x80000000, v14
	v_rcp_f32_e32 v14, v14
	v_nop
	s_delay_alu instid0(TRANS32_DEP_1) | instskip(NEXT) | instid1(VALU_DEP_1)
	v_fma_f32 v16, v15, v14, 1.0
	v_fmac_f32_e32 v14, v16, v14
	v_div_scale_f32 v16, vcc_lo, 1.0, s31, 1.0
	s_delay_alu instid0(VALU_DEP_1) | instskip(NEXT) | instid1(VALU_DEP_1)
	v_mul_f32_e32 v37, v16, v14
	v_fma_f32 v52, v15, v37, v16
	s_delay_alu instid0(VALU_DEP_1) | instskip(NEXT) | instid1(VALU_DEP_1)
	v_fmac_f32_e32 v37, v52, v14
	v_fmac_f32_e32 v16, v15, v37
	s_delay_alu instid0(VALU_DEP_1) | instskip(SKIP_1) | instid1(VALU_DEP_2)
	v_div_fmas_f32 v14, v16, v14, v37
	v_dual_sub_f32 v37, v109, v117 :: v_dual_mov_b32 v16, v116
	v_div_fixup_f32 v98, v14, s31, 1.0
	scratch_load_b64 v[14:15], off, off offset:3696 ; 8-byte Folded Reload
	s_wait_loadcnt 0x0
	v_pk_add_f32 v[14:15], v[14:15], v[16:17] neg_lo:[0,1] neg_hi:[0,1]
	s_delay_alu instid0(VALU_DEP_1) | instskip(NEXT) | instid1(VALU_DEP_1)
	v_pk_mul_f32 v[14:15], v[14:15], v[14:15]
	v_fma_f32 v14, v37, v37, v14
	s_delay_alu instid0(VALU_DEP_1) | instskip(NEXT) | instid1(VALU_DEP_1)
	v_add_f32_e32 v14, v14, v15
	v_cmp_gt_f32_e32 vcc_lo, 0xf800000, v14
	v_mul_f32_e32 v15, 0x4f800000, v14
	s_delay_alu instid0(VALU_DEP_1) | instskip(NEXT) | instid1(VALU_DEP_1)
	v_cndmask_b32_e32 v14, v14, v15, vcc_lo
	v_sqrt_f32_e32 v15, v14
	v_nop
	s_delay_alu instid0(TRANS32_DEP_1) | instskip(NEXT) | instid1(VALU_DEP_1)
	v_add_nc_u32_e32 v37, -1, v15
	v_fma_f32 v52, -v37, v15, v14
	s_delay_alu instid0(VALU_DEP_1) | instskip(NEXT) | instid1(VALU_DEP_1)
	v_cmp_ge_f32_e64 s0, 0, v52
	v_dual_add_nc_u32 v52, 1, v15 :: v_dual_cndmask_b32 v37, v15, v37, s0
	s_delay_alu instid0(VALU_DEP_1) | instskip(NEXT) | instid1(VALU_DEP_1)
	v_fma_f32 v15, -v52, v15, v14
	v_cmp_lt_f32_e64 s0, 0, v15
	s_delay_alu instid0(VALU_DEP_1) | instskip(SKIP_2) | instid1(VALU_DEP_1)
	v_cndmask_b32_e64 v15, v37, v52, s0
	scratch_load_b64 v[52:53], off, off offset:3704 ; 8-byte Folded Reload
	v_mul_f32_e32 v37, 0x37800000, v15
	v_cndmask_b32_e32 v15, v15, v37, vcc_lo
	v_cmp_class_f32_e64 vcc_lo, v14, 0x260
	s_delay_alu instid0(VALU_DEP_2) | instskip(SKIP_4) | instid1(VALU_DEP_1)
	v_cndmask_b32_e32 v14, v15, v14, vcc_lo
	v_sub_f32_e32 v15, v111, v117
	s_wait_loadcnt 0x0
	s_wait_xcnt 0x2
	v_pk_add_f32 v[118:119], v[52:53], v[16:17] neg_lo:[0,1] neg_hi:[0,1]
	v_pk_mul_f32 v[118:119], v[118:119], v[118:119]
	s_delay_alu instid0(VALU_DEP_1) | instskip(NEXT) | instid1(VALU_DEP_1)
	v_fma_f32 v15, v15, v15, v118
	v_add_f32_e32 v15, v15, v119
	s_delay_alu instid0(VALU_DEP_1) | instskip(SKIP_1) | instid1(VALU_DEP_1)
	v_cmp_gt_f32_e32 vcc_lo, 0xf800000, v15
	v_mul_f32_e32 v37, 0x4f800000, v15
	v_cndmask_b32_e32 v15, v15, v37, vcc_lo
	s_delay_alu instid0(VALU_DEP_1) | instskip(SKIP_1) | instid1(TRANS32_DEP_1)
	v_sqrt_f32_e32 v37, v15
	v_nop
	v_add_nc_u32_e32 v52, -1, v37
	s_delay_alu instid0(VALU_DEP_1) | instskip(NEXT) | instid1(VALU_DEP_1)
	v_fma_f32 v53, -v52, v37, v15
	v_cmp_ge_f32_e64 s0, 0, v53
	s_delay_alu instid0(VALU_DEP_1) | instskip(NEXT) | instid1(VALU_DEP_1)
	v_dual_add_nc_u32 v53, 1, v37 :: v_dual_cndmask_b32 v52, v37, v52, s0
	v_fma_f32 v37, -v53, v37, v15
	s_delay_alu instid0(VALU_DEP_1) | instskip(NEXT) | instid1(VALU_DEP_1)
	v_cmp_lt_f32_e64 s0, 0, v37
	v_cndmask_b32_e64 v37, v52, v53, s0
	s_delay_alu instid0(VALU_DEP_1) | instskip(NEXT) | instid1(VALU_DEP_1)
	v_mul_f32_e32 v52, 0x37800000, v37
	v_cndmask_b32_e32 v37, v37, v52, vcc_lo
	v_cmp_class_f32_e64 vcc_lo, v15, 0x260
	s_delay_alu instid0(VALU_DEP_1) | instskip(NEXT) | instid1(VALU_DEP_1)
	v_dual_cndmask_b32 v15, v37, v15, vcc_lo :: v_dual_sub_f32 v37, v18, v117
	v_pk_add_f32 v[118:119], v[14:15], v[110:111] op_sel_hi:[1,0] neg_lo:[0,1] neg_hi:[0,1]
	v_pk_fma_f32 v[14:15], v[108:109], v[14:15], 1.0 op_sel_hi:[0,1,0] neg_lo:[1,0,0] neg_hi:[1,0,0]
	s_delay_alu instid0(VALU_DEP_2) | instskip(NEXT) | instid1(VALU_DEP_3)
	v_cmp_gt_f32_e32 vcc_lo, 0, v118
	v_cmp_gt_f32_e64 s0, 0, v119
	v_cmp_gt_f32_e64 s1, s34, v118
	v_cmp_gt_f32_e64 s3, s34, v119
	v_cndmask_b32_e64 v52, 0, 0x42980000, vcc_lo
	s_delay_alu instid0(VALU_DEP_4) | instskip(NEXT) | instid1(VALU_DEP_1)
	v_cndmask_b32_e64 v53, 0, 0x42980000, s0
	v_pk_fma_f32 v[14:15], v[14:15], v[52:53], v[84:85]
	v_pk_fma_f32 v[52:53], s[18:19], v[118:119], 1.0 op_sel_hi:[0,1,0] neg_lo:[1,0,0] neg_hi:[1,0,0]
	v_cndmask_b32_e64 v85, 0, 1.0, s3
	v_cndmask_b32_e64 v84, 0, 1.0, s1
	v_cmp_gt_f32_e64 s1, s31, v119
	v_cmp_gt_f32_e64 s3, s31, v118
	v_cndmask_b32_e64 v53, v53, 1.0, s0
	v_cndmask_b32_e64 v52, v52, 1.0, vcc_lo
	s_and_b32 s1, s30, s1
	s_and_b32 s3, s30, s3
	s_delay_alu instid0(VALU_DEP_1) | instskip(SKIP_2) | instid1(VALU_DEP_3)
	v_pk_mul_f32 v[52:53], v[84:85], v[52:53]
	v_cndmask_b32_e64 v85, 0, 1.0, s1
	v_cndmask_b32_e64 v84, 0, 1.0, s3
	v_pk_mul_f32 v[52:53], v[100:101], v[52:53] op_sel_hi:[0,1]
	s_delay_alu instid0(VALU_DEP_2) | instskip(NEXT) | instid1(VALU_DEP_2)
	v_pk_mul_f32 v[84:85], s[16:17], v[84:85] op_sel_hi:[0,1]
	v_cndmask_b32_e64 v53, v53, -|v53|, s33
	s_delay_alu instid0(VALU_DEP_3) | instskip(NEXT) | instid1(VALU_DEP_1)
	v_cndmask_b32_e64 v52, v52, -|v52|, s33
	v_pk_fma_f32 v[14:15], v[52:53], s[12:13], v[14:15] op_sel_hi:[1,0,1]
	v_pk_fma_f32 v[52:53], v[98:99], v[118:119], 1.0 op_sel_hi:[0,1,0] neg_lo:[1,0,0] neg_hi:[1,0,0]
	s_delay_alu instid0(VALU_DEP_1) | instskip(NEXT) | instid1(VALU_DEP_2)
	v_cndmask_b32_e64 v53, v53, 1.0, s0
	v_cndmask_b32_e64 v52, v52, 1.0, vcc_lo
	s_delay_alu instid0(VALU_DEP_1) | instskip(SKIP_3) | instid1(VALU_DEP_1)
	v_pk_fma_f32 v[84:85], v[52:53], v[84:85], v[14:15]
	scratch_load_b64 v[14:15], off, off offset:3712 ; 8-byte Folded Reload
	s_wait_loadcnt 0x0
	v_pk_add_f32 v[14:15], v[14:15], v[16:17] neg_lo:[0,1] neg_hi:[0,1]
	v_pk_mul_f32 v[14:15], v[14:15], v[14:15]
	s_delay_alu instid0(VALU_DEP_1) | instskip(NEXT) | instid1(VALU_DEP_1)
	v_fma_f32 v14, v37, v37, v14
	v_add_f32_e32 v14, v14, v15
	s_delay_alu instid0(VALU_DEP_1) | instskip(SKIP_1) | instid1(VALU_DEP_1)
	v_cmp_gt_f32_e32 vcc_lo, 0xf800000, v14
	v_mul_f32_e32 v15, 0x4f800000, v14
	v_cndmask_b32_e32 v14, v14, v15, vcc_lo
	s_delay_alu instid0(VALU_DEP_1) | instskip(SKIP_1) | instid1(TRANS32_DEP_1)
	v_sqrt_f32_e32 v15, v14
	v_nop
	v_add_nc_u32_e32 v37, -1, v15
	s_delay_alu instid0(VALU_DEP_1) | instskip(NEXT) | instid1(VALU_DEP_1)
	v_fma_f32 v52, -v37, v15, v14
	v_cmp_ge_f32_e64 s0, 0, v52
	s_delay_alu instid0(VALU_DEP_1) | instskip(NEXT) | instid1(VALU_DEP_1)
	v_dual_add_nc_u32 v52, 1, v15 :: v_dual_cndmask_b32 v37, v15, v37, s0
	v_fma_f32 v15, -v52, v15, v14
	s_delay_alu instid0(VALU_DEP_1) | instskip(NEXT) | instid1(VALU_DEP_1)
	v_cmp_lt_f32_e64 s0, 0, v15
	v_cndmask_b32_e64 v15, v37, v52, s0
	s_delay_alu instid0(VALU_DEP_1) | instskip(NEXT) | instid1(VALU_DEP_1)
	v_mul_f32_e32 v37, 0x37800000, v15
	v_cndmask_b32_e32 v15, v15, v37, vcc_lo
	v_cmp_class_f32_e64 vcc_lo, v14, 0x260
	v_sub_f32_e32 v37, v19, v117
	s_delay_alu instid0(VALU_DEP_3) | instskip(SKIP_3) | instid1(VALU_DEP_1)
	v_cndmask_b32_e32 v118, v15, v14, vcc_lo
	scratch_load_b64 v[14:15], off, off offset:3720 ; 8-byte Folded Reload
	s_wait_loadcnt 0x0
	v_pk_add_f32 v[14:15], v[14:15], v[16:17] neg_lo:[0,1] neg_hi:[0,1]
	v_pk_mul_f32 v[14:15], v[14:15], v[14:15]
	s_delay_alu instid0(VALU_DEP_1) | instskip(NEXT) | instid1(VALU_DEP_1)
	v_fma_f32 v14, v37, v37, v14
	v_add_f32_e32 v14, v14, v15
	s_delay_alu instid0(VALU_DEP_1) | instskip(SKIP_1) | instid1(VALU_DEP_1)
	v_cmp_gt_f32_e32 vcc_lo, 0xf800000, v14
	v_mul_f32_e32 v15, 0x4f800000, v14
	v_cndmask_b32_e32 v14, v14, v15, vcc_lo
	s_delay_alu instid0(VALU_DEP_1) | instskip(SKIP_1) | instid1(TRANS32_DEP_1)
	v_sqrt_f32_e32 v15, v14
	v_nop
	v_add_nc_u32_e32 v37, -1, v15
	s_delay_alu instid0(VALU_DEP_1) | instskip(NEXT) | instid1(VALU_DEP_1)
	v_fma_f32 v52, -v37, v15, v14
	v_cmp_ge_f32_e64 s0, 0, v52
	s_delay_alu instid0(VALU_DEP_1) | instskip(NEXT) | instid1(VALU_DEP_1)
	v_dual_add_nc_u32 v52, 1, v15 :: v_dual_cndmask_b32 v37, v15, v37, s0
	v_fma_f32 v15, -v52, v15, v14
	s_delay_alu instid0(VALU_DEP_1) | instskip(NEXT) | instid1(VALU_DEP_1)
	v_cmp_lt_f32_e64 s0, 0, v15
	v_cndmask_b32_e64 v15, v37, v52, s0
	s_delay_alu instid0(VALU_DEP_1) | instskip(NEXT) | instid1(VALU_DEP_1)
	v_mul_f32_e32 v37, 0x37800000, v15
	v_cndmask_b32_e32 v15, v15, v37, vcc_lo
	v_cmp_class_f32_e64 vcc_lo, v14, 0x260
	s_delay_alu instid0(VALU_DEP_1) | instskip(NEXT) | instid1(VALU_DEP_1)
	v_dual_sub_f32 v37, v104, v117 :: v_dual_cndmask_b32 v119, v15, v14, vcc_lo
	v_pk_add_f32 v[14:15], v[118:119], v[110:111] op_sel_hi:[1,0] neg_lo:[0,1] neg_hi:[0,1]
	v_pk_fma_f32 v[52:53], v[108:109], v[118:119], 1.0 op_sel_hi:[0,1,0] neg_lo:[1,0,0] neg_hi:[1,0,0]
	s_delay_alu instid0(VALU_DEP_2) | instskip(NEXT) | instid1(VALU_DEP_3)
	v_cmp_gt_f32_e32 vcc_lo, 0, v14
	v_cmp_gt_f32_e64 s0, 0, v15
	v_cmp_gt_f32_e64 s1, s34, v14
	;; [unrolled: 1-line block ×3, first 2 shown]
	v_cndmask_b32_e64 v118, 0, 0x42980000, vcc_lo
	s_delay_alu instid0(VALU_DEP_4) | instskip(NEXT) | instid1(VALU_DEP_1)
	v_cndmask_b32_e64 v119, 0, 0x42980000, s0
	v_pk_fma_f32 v[52:53], v[52:53], v[118:119], v[86:87]
	v_pk_fma_f32 v[86:87], s[18:19], v[14:15], 1.0 op_sel_hi:[0,1,0] neg_lo:[1,0,0] neg_hi:[1,0,0]
	v_cndmask_b32_e64 v119, 0, 1.0, s3
	v_cndmask_b32_e64 v118, 0, 1.0, s1
	v_cmp_gt_f32_e64 s1, s31, v15
	v_cmp_gt_f32_e64 s3, s31, v14
	v_cndmask_b32_e64 v87, v87, 1.0, s0
	v_cndmask_b32_e64 v86, v86, 1.0, vcc_lo
	s_and_b32 s1, s30, s1
	s_and_b32 s3, s30, s3
	s_delay_alu instid0(VALU_DEP_1) | instskip(NEXT) | instid1(VALU_DEP_1)
	v_pk_mul_f32 v[86:87], v[118:119], v[86:87]
	v_pk_mul_f32 v[86:87], v[100:101], v[86:87] op_sel_hi:[0,1]
	s_delay_alu instid0(VALU_DEP_1) | instskip(NEXT) | instid1(VALU_DEP_2)
	v_cndmask_b32_e64 v87, v87, -|v87|, s33
	v_cndmask_b32_e64 v86, v86, -|v86|, s33
	s_delay_alu instid0(VALU_DEP_1) | instskip(SKIP_3) | instid1(VALU_DEP_3)
	v_pk_fma_f32 v[52:53], v[86:87], s[12:13], v[52:53] op_sel_hi:[1,0,1]
	v_pk_fma_f32 v[86:87], v[98:99], v[14:15], 1.0 op_sel_hi:[0,1,0] neg_lo:[1,0,0] neg_hi:[1,0,0]
	v_cndmask_b32_e64 v15, 0, 1.0, s1
	v_cndmask_b32_e64 v14, 0, 1.0, s3
	;; [unrolled: 1-line block ×3, first 2 shown]
	s_delay_alu instid0(VALU_DEP_4) | instskip(NEXT) | instid1(VALU_DEP_3)
	v_cndmask_b32_e64 v86, v86, 1.0, vcc_lo
	v_pk_mul_f32 v[14:15], s[16:17], v[14:15] op_sel_hi:[0,1]
	s_delay_alu instid0(VALU_DEP_1) | instskip(SKIP_3) | instid1(VALU_DEP_1)
	v_pk_fma_f32 v[86:87], v[86:87], v[14:15], v[52:53]
	scratch_load_b64 v[14:15], off, off offset:3728 ; 8-byte Folded Reload
	s_wait_loadcnt 0x0
	v_pk_add_f32 v[14:15], v[14:15], v[16:17] neg_lo:[0,1] neg_hi:[0,1]
	v_pk_mul_f32 v[14:15], v[14:15], v[14:15]
	s_delay_alu instid0(VALU_DEP_1) | instskip(NEXT) | instid1(VALU_DEP_1)
	v_fma_f32 v14, v37, v37, v14
	v_add_f32_e32 v14, v14, v15
	s_delay_alu instid0(VALU_DEP_1) | instskip(SKIP_1) | instid1(VALU_DEP_1)
	v_cmp_gt_f32_e32 vcc_lo, 0xf800000, v14
	v_mul_f32_e32 v15, 0x4f800000, v14
	v_cndmask_b32_e32 v14, v14, v15, vcc_lo
	s_delay_alu instid0(VALU_DEP_1) | instskip(SKIP_1) | instid1(TRANS32_DEP_1)
	v_sqrt_f32_e32 v15, v14
	v_nop
	v_add_nc_u32_e32 v37, -1, v15
	s_delay_alu instid0(VALU_DEP_1) | instskip(NEXT) | instid1(VALU_DEP_1)
	v_fma_f32 v52, -v37, v15, v14
	v_cmp_ge_f32_e64 s0, 0, v52
	s_delay_alu instid0(VALU_DEP_1) | instskip(NEXT) | instid1(VALU_DEP_1)
	v_dual_add_nc_u32 v52, 1, v15 :: v_dual_cndmask_b32 v37, v15, v37, s0
	v_fma_f32 v15, -v52, v15, v14
	s_delay_alu instid0(VALU_DEP_1) | instskip(NEXT) | instid1(VALU_DEP_1)
	v_cmp_lt_f32_e64 s0, 0, v15
	v_cndmask_b32_e64 v15, v37, v52, s0
	scratch_load_b64 v[52:53], off, off offset:3736 ; 8-byte Folded Reload
	v_mul_f32_e32 v37, 0x37800000, v15
	s_delay_alu instid0(VALU_DEP_1) | instskip(SKIP_1) | instid1(VALU_DEP_2)
	v_cndmask_b32_e32 v15, v15, v37, vcc_lo
	v_cmp_class_f32_e64 vcc_lo, v14, 0x260
	v_dual_cndmask_b32 v14, v15, v14 :: v_dual_sub_f32 v15, v105, v117
	s_wait_loadcnt 0x0
	v_pk_add_f32 v[52:53], v[52:53], v[16:17] neg_lo:[0,1] neg_hi:[0,1]
	s_delay_alu instid0(VALU_DEP_1) | instskip(NEXT) | instid1(VALU_DEP_1)
	v_pk_mul_f32 v[52:53], v[52:53], v[52:53]
	v_fma_f32 v15, v15, v15, v52
	s_delay_alu instid0(VALU_DEP_1) | instskip(NEXT) | instid1(VALU_DEP_1)
	v_add_f32_e32 v15, v15, v53
	v_cmp_gt_f32_e32 vcc_lo, 0xf800000, v15
	v_mul_f32_e32 v37, 0x4f800000, v15
	s_delay_alu instid0(VALU_DEP_1) | instskip(NEXT) | instid1(VALU_DEP_1)
	v_cndmask_b32_e32 v15, v15, v37, vcc_lo
	v_sqrt_f32_e32 v37, v15
	v_nop
	s_delay_alu instid0(TRANS32_DEP_1) | instskip(NEXT) | instid1(VALU_DEP_1)
	v_add_nc_u32_e32 v52, -1, v37
	v_fma_f32 v53, -v52, v37, v15
	s_delay_alu instid0(VALU_DEP_1) | instskip(NEXT) | instid1(VALU_DEP_1)
	v_cmp_ge_f32_e64 s0, 0, v53
	v_dual_add_nc_u32 v53, 1, v37 :: v_dual_cndmask_b32 v52, v37, v52, s0
	s_delay_alu instid0(VALU_DEP_1) | instskip(NEXT) | instid1(VALU_DEP_1)
	v_fma_f32 v37, -v53, v37, v15
	v_cmp_lt_f32_e64 s0, 0, v37
	s_delay_alu instid0(VALU_DEP_1) | instskip(NEXT) | instid1(VALU_DEP_1)
	v_cndmask_b32_e64 v37, v52, v53, s0
	v_mul_f32_e32 v52, 0x37800000, v37
	s_delay_alu instid0(VALU_DEP_1) | instskip(SKIP_1) | instid1(VALU_DEP_1)
	v_cndmask_b32_e32 v37, v37, v52, vcc_lo
	v_cmp_class_f32_e64 vcc_lo, v15, 0x260
	v_dual_cndmask_b32 v15, v37, v15, vcc_lo :: v_dual_sub_f32 v37, v106, v117
	s_delay_alu instid0(VALU_DEP_1) | instskip(SKIP_1) | instid1(VALU_DEP_2)
	v_pk_add_f32 v[52:53], v[14:15], v[110:111] op_sel_hi:[1,0] neg_lo:[0,1] neg_hi:[0,1]
	v_pk_fma_f32 v[14:15], v[108:109], v[14:15], 1.0 op_sel_hi:[0,1,0] neg_lo:[1,0,0] neg_hi:[1,0,0]
	v_cmp_gt_f32_e32 vcc_lo, 0, v52
	s_delay_alu instid0(VALU_DEP_3) | instskip(SKIP_3) | instid1(VALU_DEP_4)
	v_cmp_gt_f32_e64 s0, 0, v53
	v_cmp_gt_f32_e64 s1, s34, v52
	;; [unrolled: 1-line block ×3, first 2 shown]
	v_cndmask_b32_e64 v118, 0, 0x42980000, vcc_lo
	v_cndmask_b32_e64 v119, 0, 0x42980000, s0
	s_delay_alu instid0(VALU_DEP_1)
	v_pk_fma_f32 v[14:15], v[14:15], v[118:119], v[72:73]
	v_pk_fma_f32 v[72:73], s[18:19], v[52:53], 1.0 op_sel_hi:[0,1,0] neg_lo:[1,0,0] neg_hi:[1,0,0]
	v_cndmask_b32_e64 v119, 0, 1.0, s3
	v_cndmask_b32_e64 v118, 0, 1.0, s1
	v_cmp_gt_f32_e64 s1, s31, v53
	v_cmp_gt_f32_e64 s3, s31, v52
	v_cndmask_b32_e64 v73, v73, 1.0, s0
	v_cndmask_b32_e64 v72, v72, 1.0, vcc_lo
	s_and_b32 s1, s30, s1
	s_and_b32 s3, s30, s3
	s_delay_alu instid0(VALU_DEP_1) | instskip(NEXT) | instid1(VALU_DEP_1)
	v_pk_mul_f32 v[72:73], v[118:119], v[72:73]
	v_pk_mul_f32 v[72:73], v[100:101], v[72:73] op_sel_hi:[0,1]
	s_delay_alu instid0(VALU_DEP_1) | instskip(NEXT) | instid1(VALU_DEP_2)
	v_cndmask_b32_e64 v73, v73, -|v73|, s33
	v_cndmask_b32_e64 v72, v72, -|v72|, s33
	s_delay_alu instid0(VALU_DEP_1) | instskip(SKIP_3) | instid1(VALU_DEP_3)
	v_pk_fma_f32 v[14:15], v[72:73], s[12:13], v[14:15] op_sel_hi:[1,0,1]
	v_pk_fma_f32 v[72:73], v[98:99], v[52:53], 1.0 op_sel_hi:[0,1,0] neg_lo:[1,0,0] neg_hi:[1,0,0]
	v_cndmask_b32_e64 v53, 0, 1.0, s1
	v_cndmask_b32_e64 v52, 0, 1.0, s3
	;; [unrolled: 1-line block ×3, first 2 shown]
	s_delay_alu instid0(VALU_DEP_4) | instskip(NEXT) | instid1(VALU_DEP_3)
	v_cndmask_b32_e64 v72, v72, 1.0, vcc_lo
	v_pk_mul_f32 v[52:53], s[16:17], v[52:53] op_sel_hi:[0,1]
	s_delay_alu instid0(VALU_DEP_1) | instskip(SKIP_3) | instid1(VALU_DEP_1)
	v_pk_fma_f32 v[72:73], v[72:73], v[52:53], v[14:15]
	scratch_load_b64 v[14:15], off, off offset:3744 ; 8-byte Folded Reload
	s_wait_loadcnt 0x0
	v_pk_add_f32 v[14:15], v[14:15], v[16:17] neg_lo:[0,1] neg_hi:[0,1]
	v_pk_mul_f32 v[14:15], v[14:15], v[14:15]
	s_delay_alu instid0(VALU_DEP_1) | instskip(NEXT) | instid1(VALU_DEP_1)
	v_fma_f32 v14, v37, v37, v14
	v_add_f32_e32 v14, v14, v15
	s_delay_alu instid0(VALU_DEP_1) | instskip(SKIP_1) | instid1(VALU_DEP_1)
	v_cmp_gt_f32_e32 vcc_lo, 0xf800000, v14
	v_mul_f32_e32 v15, 0x4f800000, v14
	v_cndmask_b32_e32 v14, v14, v15, vcc_lo
	s_delay_alu instid0(VALU_DEP_1) | instskip(SKIP_1) | instid1(TRANS32_DEP_1)
	v_sqrt_f32_e32 v15, v14
	v_nop
	v_add_nc_u32_e32 v37, -1, v15
	s_delay_alu instid0(VALU_DEP_1) | instskip(NEXT) | instid1(VALU_DEP_1)
	v_fma_f32 v52, -v37, v15, v14
	v_cmp_ge_f32_e64 s0, 0, v52
	s_delay_alu instid0(VALU_DEP_1) | instskip(NEXT) | instid1(VALU_DEP_1)
	v_dual_add_nc_u32 v52, 1, v15 :: v_dual_cndmask_b32 v37, v15, v37, s0
	v_fma_f32 v15, -v52, v15, v14
	s_delay_alu instid0(VALU_DEP_1) | instskip(NEXT) | instid1(VALU_DEP_1)
	v_cmp_lt_f32_e64 s0, 0, v15
	v_cndmask_b32_e64 v15, v37, v52, s0
	s_delay_alu instid0(VALU_DEP_1) | instskip(NEXT) | instid1(VALU_DEP_1)
	v_mul_f32_e32 v37, 0x37800000, v15
	v_cndmask_b32_e32 v15, v15, v37, vcc_lo
	v_cmp_class_f32_e64 vcc_lo, v14, 0x260
	v_sub_f32_e32 v37, v107, v117
	s_delay_alu instid0(VALU_DEP_3) | instskip(SKIP_3) | instid1(VALU_DEP_1)
	v_cndmask_b32_e32 v118, v15, v14, vcc_lo
	scratch_load_b64 v[14:15], off, off offset:3752 ; 8-byte Folded Reload
	s_wait_loadcnt 0x0
	v_pk_add_f32 v[14:15], v[14:15], v[16:17] neg_lo:[0,1] neg_hi:[0,1]
	v_pk_mul_f32 v[14:15], v[14:15], v[14:15]
	s_delay_alu instid0(VALU_DEP_1) | instskip(NEXT) | instid1(VALU_DEP_1)
	v_fma_f32 v14, v37, v37, v14
	v_add_f32_e32 v14, v14, v15
	s_delay_alu instid0(VALU_DEP_1) | instskip(SKIP_1) | instid1(VALU_DEP_1)
	v_cmp_gt_f32_e32 vcc_lo, 0xf800000, v14
	v_mul_f32_e32 v15, 0x4f800000, v14
	v_cndmask_b32_e32 v14, v14, v15, vcc_lo
	s_delay_alu instid0(VALU_DEP_1) | instskip(SKIP_1) | instid1(TRANS32_DEP_1)
	v_sqrt_f32_e32 v15, v14
	v_nop
	v_add_nc_u32_e32 v37, -1, v15
	s_delay_alu instid0(VALU_DEP_1) | instskip(NEXT) | instid1(VALU_DEP_1)
	v_fma_f32 v52, -v37, v15, v14
	v_cmp_ge_f32_e64 s0, 0, v52
	s_delay_alu instid0(VALU_DEP_1) | instskip(NEXT) | instid1(VALU_DEP_1)
	v_dual_add_nc_u32 v52, 1, v15 :: v_dual_cndmask_b32 v37, v15, v37, s0
	v_fma_f32 v15, -v52, v15, v14
	s_delay_alu instid0(VALU_DEP_1) | instskip(NEXT) | instid1(VALU_DEP_1)
	v_cmp_lt_f32_e64 s0, 0, v15
	v_cndmask_b32_e64 v15, v37, v52, s0
	s_delay_alu instid0(VALU_DEP_1) | instskip(NEXT) | instid1(VALU_DEP_1)
	v_mul_f32_e32 v37, 0x37800000, v15
	v_cndmask_b32_e32 v15, v15, v37, vcc_lo
	v_cmp_class_f32_e64 vcc_lo, v14, 0x260
	s_delay_alu instid0(VALU_DEP_1) | instskip(NEXT) | instid1(VALU_DEP_1)
	v_dual_sub_f32 v37, v88, v117 :: v_dual_cndmask_b32 v119, v15, v14, vcc_lo
	v_pk_add_f32 v[14:15], v[118:119], v[110:111] op_sel_hi:[1,0] neg_lo:[0,1] neg_hi:[0,1]
	v_pk_fma_f32 v[52:53], v[108:109], v[118:119], 1.0 op_sel_hi:[0,1,0] neg_lo:[1,0,0] neg_hi:[1,0,0]
	s_delay_alu instid0(VALU_DEP_2) | instskip(NEXT) | instid1(VALU_DEP_3)
	v_cmp_gt_f32_e32 vcc_lo, 0, v14
	v_cmp_gt_f32_e64 s0, 0, v15
	v_cmp_gt_f32_e64 s1, s34, v14
	;; [unrolled: 1-line block ×3, first 2 shown]
	v_cndmask_b32_e64 v118, 0, 0x42980000, vcc_lo
	s_delay_alu instid0(VALU_DEP_4) | instskip(NEXT) | instid1(VALU_DEP_1)
	v_cndmask_b32_e64 v119, 0, 0x42980000, s0
	v_pk_fma_f32 v[52:53], v[52:53], v[118:119], v[74:75]
	v_pk_fma_f32 v[74:75], s[18:19], v[14:15], 1.0 op_sel_hi:[0,1,0] neg_lo:[1,0,0] neg_hi:[1,0,0]
	v_cndmask_b32_e64 v119, 0, 1.0, s3
	v_cndmask_b32_e64 v118, 0, 1.0, s1
	v_cmp_gt_f32_e64 s1, s31, v15
	v_cmp_gt_f32_e64 s3, s31, v14
	v_cndmask_b32_e64 v75, v75, 1.0, s0
	v_cndmask_b32_e64 v74, v74, 1.0, vcc_lo
	s_and_b32 s1, s30, s1
	s_and_b32 s3, s30, s3
	s_delay_alu instid0(VALU_DEP_1) | instskip(NEXT) | instid1(VALU_DEP_1)
	v_pk_mul_f32 v[74:75], v[118:119], v[74:75]
	v_pk_mul_f32 v[74:75], v[100:101], v[74:75] op_sel_hi:[0,1]
	s_delay_alu instid0(VALU_DEP_1) | instskip(NEXT) | instid1(VALU_DEP_2)
	v_cndmask_b32_e64 v75, v75, -|v75|, s33
	v_cndmask_b32_e64 v74, v74, -|v74|, s33
	s_delay_alu instid0(VALU_DEP_1) | instskip(SKIP_3) | instid1(VALU_DEP_3)
	v_pk_fma_f32 v[52:53], v[74:75], s[12:13], v[52:53] op_sel_hi:[1,0,1]
	v_pk_fma_f32 v[74:75], v[98:99], v[14:15], 1.0 op_sel_hi:[0,1,0] neg_lo:[1,0,0] neg_hi:[1,0,0]
	v_cndmask_b32_e64 v15, 0, 1.0, s1
	v_cndmask_b32_e64 v14, 0, 1.0, s3
	;; [unrolled: 1-line block ×3, first 2 shown]
	s_delay_alu instid0(VALU_DEP_4) | instskip(NEXT) | instid1(VALU_DEP_3)
	v_cndmask_b32_e64 v74, v74, 1.0, vcc_lo
	v_pk_mul_f32 v[14:15], s[16:17], v[14:15] op_sel_hi:[0,1]
	s_delay_alu instid0(VALU_DEP_1) | instskip(SKIP_3) | instid1(VALU_DEP_1)
	v_pk_fma_f32 v[74:75], v[74:75], v[14:15], v[52:53]
	scratch_load_b64 v[14:15], off, off offset:3760 ; 8-byte Folded Reload
	s_wait_loadcnt 0x0
	v_pk_add_f32 v[14:15], v[14:15], v[16:17] neg_lo:[0,1] neg_hi:[0,1]
	v_pk_mul_f32 v[14:15], v[14:15], v[14:15]
	s_delay_alu instid0(VALU_DEP_1) | instskip(NEXT) | instid1(VALU_DEP_1)
	v_fma_f32 v14, v37, v37, v14
	v_add_f32_e32 v14, v14, v15
	s_delay_alu instid0(VALU_DEP_1) | instskip(SKIP_1) | instid1(VALU_DEP_1)
	v_cmp_gt_f32_e32 vcc_lo, 0xf800000, v14
	v_mul_f32_e32 v15, 0x4f800000, v14
	v_cndmask_b32_e32 v14, v14, v15, vcc_lo
	s_delay_alu instid0(VALU_DEP_1) | instskip(SKIP_1) | instid1(TRANS32_DEP_1)
	v_sqrt_f32_e32 v15, v14
	v_nop
	v_add_nc_u32_e32 v37, -1, v15
	s_delay_alu instid0(VALU_DEP_1) | instskip(NEXT) | instid1(VALU_DEP_1)
	v_fma_f32 v52, -v37, v15, v14
	v_cmp_ge_f32_e64 s0, 0, v52
	s_delay_alu instid0(VALU_DEP_1) | instskip(NEXT) | instid1(VALU_DEP_1)
	v_dual_add_nc_u32 v52, 1, v15 :: v_dual_cndmask_b32 v37, v15, v37, s0
	v_fma_f32 v15, -v52, v15, v14
	s_delay_alu instid0(VALU_DEP_1) | instskip(NEXT) | instid1(VALU_DEP_1)
	v_cmp_lt_f32_e64 s0, 0, v15
	v_cndmask_b32_e64 v15, v37, v52, s0
	scratch_load_b64 v[52:53], off, off offset:3768 ; 8-byte Folded Reload
	v_mul_f32_e32 v37, 0x37800000, v15
	s_delay_alu instid0(VALU_DEP_1) | instskip(SKIP_1) | instid1(VALU_DEP_2)
	v_cndmask_b32_e32 v15, v15, v37, vcc_lo
	v_cmp_class_f32_e64 vcc_lo, v14, 0x260
	v_dual_cndmask_b32 v14, v15, v14 :: v_dual_sub_f32 v15, v89, v117
	s_wait_loadcnt 0x0
	v_pk_add_f32 v[52:53], v[52:53], v[16:17] neg_lo:[0,1] neg_hi:[0,1]
	s_delay_alu instid0(VALU_DEP_1) | instskip(NEXT) | instid1(VALU_DEP_1)
	v_pk_mul_f32 v[52:53], v[52:53], v[52:53]
	v_fma_f32 v15, v15, v15, v52
	s_delay_alu instid0(VALU_DEP_1) | instskip(NEXT) | instid1(VALU_DEP_1)
	v_add_f32_e32 v15, v15, v53
	v_cmp_gt_f32_e32 vcc_lo, 0xf800000, v15
	v_mul_f32_e32 v37, 0x4f800000, v15
	s_delay_alu instid0(VALU_DEP_1) | instskip(NEXT) | instid1(VALU_DEP_1)
	v_cndmask_b32_e32 v15, v15, v37, vcc_lo
	v_sqrt_f32_e32 v37, v15
	v_nop
	s_delay_alu instid0(TRANS32_DEP_1) | instskip(NEXT) | instid1(VALU_DEP_1)
	v_add_nc_u32_e32 v52, -1, v37
	v_fma_f32 v53, -v52, v37, v15
	s_delay_alu instid0(VALU_DEP_1) | instskip(NEXT) | instid1(VALU_DEP_1)
	v_cmp_ge_f32_e64 s0, 0, v53
	v_dual_add_nc_u32 v53, 1, v37 :: v_dual_cndmask_b32 v52, v37, v52, s0
	s_delay_alu instid0(VALU_DEP_1) | instskip(NEXT) | instid1(VALU_DEP_1)
	v_fma_f32 v37, -v53, v37, v15
	v_cmp_lt_f32_e64 s0, 0, v37
	s_delay_alu instid0(VALU_DEP_1) | instskip(NEXT) | instid1(VALU_DEP_1)
	v_cndmask_b32_e64 v37, v52, v53, s0
	v_mul_f32_e32 v52, 0x37800000, v37
	s_delay_alu instid0(VALU_DEP_1) | instskip(SKIP_1) | instid1(VALU_DEP_1)
	v_cndmask_b32_e32 v37, v37, v52, vcc_lo
	v_cmp_class_f32_e64 vcc_lo, v15, 0x260
	v_dual_cndmask_b32 v15, v37, v15, vcc_lo :: v_dual_sub_f32 v37, v90, v117
	s_delay_alu instid0(VALU_DEP_1) | instskip(SKIP_1) | instid1(VALU_DEP_2)
	v_pk_add_f32 v[52:53], v[14:15], v[110:111] op_sel_hi:[1,0] neg_lo:[0,1] neg_hi:[0,1]
	v_pk_fma_f32 v[14:15], v[108:109], v[14:15], 1.0 op_sel_hi:[0,1,0] neg_lo:[1,0,0] neg_hi:[1,0,0]
	v_cmp_gt_f32_e32 vcc_lo, 0, v52
	s_delay_alu instid0(VALU_DEP_3) | instskip(SKIP_3) | instid1(VALU_DEP_4)
	v_cmp_gt_f32_e64 s0, 0, v53
	v_cmp_gt_f32_e64 s1, s34, v52
	;; [unrolled: 1-line block ×3, first 2 shown]
	v_cndmask_b32_e64 v118, 0, 0x42980000, vcc_lo
	v_cndmask_b32_e64 v119, 0, 0x42980000, s0
	s_delay_alu instid0(VALU_DEP_1)
	v_pk_fma_f32 v[14:15], v[14:15], v[118:119], v[60:61]
	v_pk_fma_f32 v[60:61], s[18:19], v[52:53], 1.0 op_sel_hi:[0,1,0] neg_lo:[1,0,0] neg_hi:[1,0,0]
	v_cndmask_b32_e64 v119, 0, 1.0, s3
	v_cndmask_b32_e64 v118, 0, 1.0, s1
	v_cmp_gt_f32_e64 s1, s31, v53
	v_cmp_gt_f32_e64 s3, s31, v52
	v_cndmask_b32_e64 v61, v61, 1.0, s0
	v_cndmask_b32_e64 v60, v60, 1.0, vcc_lo
	s_and_b32 s1, s30, s1
	s_and_b32 s3, s30, s3
	s_delay_alu instid0(VALU_DEP_1) | instskip(NEXT) | instid1(VALU_DEP_1)
	v_pk_mul_f32 v[60:61], v[118:119], v[60:61]
	v_pk_mul_f32 v[60:61], v[100:101], v[60:61] op_sel_hi:[0,1]
	s_delay_alu instid0(VALU_DEP_1) | instskip(NEXT) | instid1(VALU_DEP_2)
	v_cndmask_b32_e64 v61, v61, -|v61|, s33
	v_cndmask_b32_e64 v60, v60, -|v60|, s33
	s_delay_alu instid0(VALU_DEP_1) | instskip(SKIP_3) | instid1(VALU_DEP_3)
	v_pk_fma_f32 v[14:15], v[60:61], s[12:13], v[14:15] op_sel_hi:[1,0,1]
	v_pk_fma_f32 v[60:61], v[98:99], v[52:53], 1.0 op_sel_hi:[0,1,0] neg_lo:[1,0,0] neg_hi:[1,0,0]
	v_cndmask_b32_e64 v53, 0, 1.0, s1
	v_cndmask_b32_e64 v52, 0, 1.0, s3
	v_cndmask_b32_e64 v61, v61, 1.0, s0
	s_delay_alu instid0(VALU_DEP_4) | instskip(NEXT) | instid1(VALU_DEP_3)
	v_cndmask_b32_e64 v60, v60, 1.0, vcc_lo
	v_pk_mul_f32 v[52:53], s[16:17], v[52:53] op_sel_hi:[0,1]
	s_delay_alu instid0(VALU_DEP_1) | instskip(SKIP_3) | instid1(VALU_DEP_1)
	v_pk_fma_f32 v[60:61], v[60:61], v[52:53], v[14:15]
	scratch_load_b64 v[14:15], off, off offset:3776 ; 8-byte Folded Reload
	s_wait_loadcnt 0x0
	v_pk_add_f32 v[14:15], v[14:15], v[16:17] neg_lo:[0,1] neg_hi:[0,1]
	v_pk_mul_f32 v[14:15], v[14:15], v[14:15]
	s_delay_alu instid0(VALU_DEP_1) | instskip(NEXT) | instid1(VALU_DEP_1)
	v_fma_f32 v14, v37, v37, v14
	v_add_f32_e32 v14, v14, v15
	s_delay_alu instid0(VALU_DEP_1) | instskip(SKIP_1) | instid1(VALU_DEP_1)
	v_cmp_gt_f32_e32 vcc_lo, 0xf800000, v14
	v_mul_f32_e32 v15, 0x4f800000, v14
	v_cndmask_b32_e32 v14, v14, v15, vcc_lo
	s_delay_alu instid0(VALU_DEP_1) | instskip(SKIP_1) | instid1(TRANS32_DEP_1)
	v_sqrt_f32_e32 v15, v14
	v_nop
	v_add_nc_u32_e32 v37, -1, v15
	s_delay_alu instid0(VALU_DEP_1) | instskip(NEXT) | instid1(VALU_DEP_1)
	v_fma_f32 v52, -v37, v15, v14
	v_cmp_ge_f32_e64 s0, 0, v52
	s_delay_alu instid0(VALU_DEP_1) | instskip(NEXT) | instid1(VALU_DEP_1)
	v_dual_add_nc_u32 v52, 1, v15 :: v_dual_cndmask_b32 v37, v15, v37, s0
	v_fma_f32 v15, -v52, v15, v14
	s_delay_alu instid0(VALU_DEP_1) | instskip(NEXT) | instid1(VALU_DEP_1)
	v_cmp_lt_f32_e64 s0, 0, v15
	v_cndmask_b32_e64 v15, v37, v52, s0
	s_delay_alu instid0(VALU_DEP_1) | instskip(NEXT) | instid1(VALU_DEP_1)
	v_mul_f32_e32 v37, 0x37800000, v15
	v_cndmask_b32_e32 v15, v15, v37, vcc_lo
	v_cmp_class_f32_e64 vcc_lo, v14, 0x260
	v_sub_f32_e32 v37, v91, v117
	s_delay_alu instid0(VALU_DEP_3) | instskip(SKIP_3) | instid1(VALU_DEP_1)
	v_cndmask_b32_e32 v118, v15, v14, vcc_lo
	scratch_load_b64 v[14:15], off, off offset:3784 ; 8-byte Folded Reload
	s_wait_loadcnt 0x0
	v_pk_add_f32 v[14:15], v[14:15], v[16:17] neg_lo:[0,1] neg_hi:[0,1]
	v_pk_mul_f32 v[14:15], v[14:15], v[14:15]
	s_delay_alu instid0(VALU_DEP_1) | instskip(NEXT) | instid1(VALU_DEP_1)
	v_fma_f32 v14, v37, v37, v14
	v_add_f32_e32 v14, v14, v15
	s_delay_alu instid0(VALU_DEP_1) | instskip(SKIP_1) | instid1(VALU_DEP_1)
	v_cmp_gt_f32_e32 vcc_lo, 0xf800000, v14
	v_mul_f32_e32 v15, 0x4f800000, v14
	v_cndmask_b32_e32 v14, v14, v15, vcc_lo
	s_delay_alu instid0(VALU_DEP_1) | instskip(SKIP_1) | instid1(TRANS32_DEP_1)
	v_sqrt_f32_e32 v15, v14
	v_nop
	v_add_nc_u32_e32 v37, -1, v15
	s_delay_alu instid0(VALU_DEP_1) | instskip(NEXT) | instid1(VALU_DEP_1)
	v_fma_f32 v52, -v37, v15, v14
	v_cmp_ge_f32_e64 s0, 0, v52
	s_delay_alu instid0(VALU_DEP_1) | instskip(NEXT) | instid1(VALU_DEP_1)
	v_dual_add_nc_u32 v52, 1, v15 :: v_dual_cndmask_b32 v37, v15, v37, s0
	v_fma_f32 v15, -v52, v15, v14
	s_delay_alu instid0(VALU_DEP_1) | instskip(NEXT) | instid1(VALU_DEP_1)
	v_cmp_lt_f32_e64 s0, 0, v15
	v_cndmask_b32_e64 v15, v37, v52, s0
	s_delay_alu instid0(VALU_DEP_1) | instskip(NEXT) | instid1(VALU_DEP_1)
	v_mul_f32_e32 v37, 0x37800000, v15
	v_cndmask_b32_e32 v15, v15, v37, vcc_lo
	v_cmp_class_f32_e64 vcc_lo, v14, 0x260
	s_delay_alu instid0(VALU_DEP_1) | instskip(NEXT) | instid1(VALU_DEP_1)
	v_dual_sub_f32 v37, v44, v117 :: v_dual_cndmask_b32 v119, v15, v14, vcc_lo
	v_pk_add_f32 v[14:15], v[118:119], v[110:111] op_sel_hi:[1,0] neg_lo:[0,1] neg_hi:[0,1]
	v_pk_fma_f32 v[52:53], v[108:109], v[118:119], 1.0 op_sel_hi:[0,1,0] neg_lo:[1,0,0] neg_hi:[1,0,0]
	s_delay_alu instid0(VALU_DEP_2) | instskip(NEXT) | instid1(VALU_DEP_3)
	v_cmp_gt_f32_e32 vcc_lo, 0, v14
	v_cmp_gt_f32_e64 s0, 0, v15
	v_cmp_gt_f32_e64 s1, s34, v14
	;; [unrolled: 1-line block ×3, first 2 shown]
	v_cndmask_b32_e64 v118, 0, 0x42980000, vcc_lo
	s_delay_alu instid0(VALU_DEP_4) | instskip(NEXT) | instid1(VALU_DEP_1)
	v_cndmask_b32_e64 v119, 0, 0x42980000, s0
	v_pk_fma_f32 v[52:53], v[52:53], v[118:119], v[62:63]
	v_pk_fma_f32 v[62:63], s[18:19], v[14:15], 1.0 op_sel_hi:[0,1,0] neg_lo:[1,0,0] neg_hi:[1,0,0]
	v_cndmask_b32_e64 v119, 0, 1.0, s3
	v_cndmask_b32_e64 v118, 0, 1.0, s1
	v_cmp_gt_f32_e64 s1, s31, v15
	v_cmp_gt_f32_e64 s3, s31, v14
	v_cndmask_b32_e64 v63, v63, 1.0, s0
	v_cndmask_b32_e64 v62, v62, 1.0, vcc_lo
	s_and_b32 s1, s30, s1
	s_and_b32 s3, s30, s3
	s_delay_alu instid0(VALU_DEP_1) | instskip(NEXT) | instid1(VALU_DEP_1)
	v_pk_mul_f32 v[62:63], v[118:119], v[62:63]
	v_pk_mul_f32 v[62:63], v[100:101], v[62:63] op_sel_hi:[0,1]
	s_delay_alu instid0(VALU_DEP_1) | instskip(NEXT) | instid1(VALU_DEP_2)
	v_cndmask_b32_e64 v63, v63, -|v63|, s33
	v_cndmask_b32_e64 v62, v62, -|v62|, s33
	s_delay_alu instid0(VALU_DEP_1) | instskip(SKIP_3) | instid1(VALU_DEP_3)
	v_pk_fma_f32 v[52:53], v[62:63], s[12:13], v[52:53] op_sel_hi:[1,0,1]
	v_pk_fma_f32 v[62:63], v[98:99], v[14:15], 1.0 op_sel_hi:[0,1,0] neg_lo:[1,0,0] neg_hi:[1,0,0]
	v_cndmask_b32_e64 v15, 0, 1.0, s1
	v_cndmask_b32_e64 v14, 0, 1.0, s3
	;; [unrolled: 1-line block ×3, first 2 shown]
	s_delay_alu instid0(VALU_DEP_4) | instskip(NEXT) | instid1(VALU_DEP_3)
	v_cndmask_b32_e64 v62, v62, 1.0, vcc_lo
	v_pk_mul_f32 v[14:15], s[16:17], v[14:15] op_sel_hi:[0,1]
	s_delay_alu instid0(VALU_DEP_1) | instskip(SKIP_3) | instid1(VALU_DEP_1)
	v_pk_fma_f32 v[62:63], v[62:63], v[14:15], v[52:53]
	scratch_load_b64 v[14:15], off, off offset:3792 ; 8-byte Folded Reload
	s_wait_loadcnt 0x0
	v_pk_add_f32 v[14:15], v[14:15], v[16:17] neg_lo:[0,1] neg_hi:[0,1]
	v_pk_mul_f32 v[14:15], v[14:15], v[14:15]
	s_delay_alu instid0(VALU_DEP_1) | instskip(NEXT) | instid1(VALU_DEP_1)
	v_fma_f32 v14, v37, v37, v14
	v_add_f32_e32 v14, v14, v15
	s_delay_alu instid0(VALU_DEP_1) | instskip(SKIP_1) | instid1(VALU_DEP_1)
	v_cmp_gt_f32_e32 vcc_lo, 0xf800000, v14
	v_mul_f32_e32 v15, 0x4f800000, v14
	v_cndmask_b32_e32 v14, v14, v15, vcc_lo
	s_delay_alu instid0(VALU_DEP_1) | instskip(SKIP_1) | instid1(TRANS32_DEP_1)
	v_sqrt_f32_e32 v15, v14
	v_nop
	v_add_nc_u32_e32 v37, -1, v15
	s_delay_alu instid0(VALU_DEP_1) | instskip(NEXT) | instid1(VALU_DEP_1)
	v_fma_f32 v52, -v37, v15, v14
	v_cmp_ge_f32_e64 s0, 0, v52
	s_delay_alu instid0(VALU_DEP_1) | instskip(NEXT) | instid1(VALU_DEP_1)
	v_dual_add_nc_u32 v52, 1, v15 :: v_dual_cndmask_b32 v37, v15, v37, s0
	v_fma_f32 v15, -v52, v15, v14
	s_delay_alu instid0(VALU_DEP_1) | instskip(NEXT) | instid1(VALU_DEP_1)
	v_cmp_lt_f32_e64 s0, 0, v15
	v_cndmask_b32_e64 v15, v37, v52, s0
	scratch_load_b64 v[52:53], off, off offset:3800 ; 8-byte Folded Reload
	v_mul_f32_e32 v37, 0x37800000, v15
	s_delay_alu instid0(VALU_DEP_1) | instskip(SKIP_1) | instid1(VALU_DEP_2)
	v_cndmask_b32_e32 v15, v15, v37, vcc_lo
	v_cmp_class_f32_e64 vcc_lo, v14, 0x260
	v_dual_cndmask_b32 v14, v15, v14 :: v_dual_sub_f32 v15, v45, v117
	s_wait_loadcnt 0x0
	v_pk_add_f32 v[52:53], v[52:53], v[16:17] neg_lo:[0,1] neg_hi:[0,1]
	s_delay_alu instid0(VALU_DEP_1) | instskip(NEXT) | instid1(VALU_DEP_1)
	v_pk_mul_f32 v[52:53], v[52:53], v[52:53]
	v_fma_f32 v15, v15, v15, v52
	s_delay_alu instid0(VALU_DEP_1) | instskip(NEXT) | instid1(VALU_DEP_1)
	v_add_f32_e32 v15, v15, v53
	v_cmp_gt_f32_e32 vcc_lo, 0xf800000, v15
	v_mul_f32_e32 v37, 0x4f800000, v15
	s_delay_alu instid0(VALU_DEP_1) | instskip(NEXT) | instid1(VALU_DEP_1)
	v_cndmask_b32_e32 v15, v15, v37, vcc_lo
	v_sqrt_f32_e32 v37, v15
	v_nop
	s_delay_alu instid0(TRANS32_DEP_1) | instskip(NEXT) | instid1(VALU_DEP_1)
	v_add_nc_u32_e32 v52, -1, v37
	v_fma_f32 v53, -v52, v37, v15
	s_delay_alu instid0(VALU_DEP_1) | instskip(NEXT) | instid1(VALU_DEP_1)
	v_cmp_ge_f32_e64 s0, 0, v53
	v_dual_add_nc_u32 v53, 1, v37 :: v_dual_cndmask_b32 v52, v37, v52, s0
	s_delay_alu instid0(VALU_DEP_1) | instskip(NEXT) | instid1(VALU_DEP_1)
	v_fma_f32 v37, -v53, v37, v15
	v_cmp_lt_f32_e64 s0, 0, v37
	s_delay_alu instid0(VALU_DEP_1) | instskip(NEXT) | instid1(VALU_DEP_1)
	v_cndmask_b32_e64 v37, v52, v53, s0
	v_mul_f32_e32 v52, 0x37800000, v37
	s_delay_alu instid0(VALU_DEP_1) | instskip(SKIP_1) | instid1(VALU_DEP_1)
	v_cndmask_b32_e32 v37, v37, v52, vcc_lo
	v_cmp_class_f32_e64 vcc_lo, v15, 0x260
	v_dual_cndmask_b32 v15, v37, v15, vcc_lo :: v_dual_sub_f32 v37, v46, v117
	s_delay_alu instid0(VALU_DEP_1) | instskip(SKIP_1) | instid1(VALU_DEP_2)
	v_pk_add_f32 v[52:53], v[14:15], v[110:111] op_sel_hi:[1,0] neg_lo:[0,1] neg_hi:[0,1]
	v_pk_fma_f32 v[14:15], v[108:109], v[14:15], 1.0 op_sel_hi:[0,1,0] neg_lo:[1,0,0] neg_hi:[1,0,0]
	v_cmp_gt_f32_e32 vcc_lo, 0, v52
	s_delay_alu instid0(VALU_DEP_3) | instskip(SKIP_3) | instid1(VALU_DEP_4)
	v_cmp_gt_f32_e64 s0, 0, v53
	v_cmp_gt_f32_e64 s1, s34, v52
	;; [unrolled: 1-line block ×3, first 2 shown]
	v_cndmask_b32_e64 v118, 0, 0x42980000, vcc_lo
	v_cndmask_b32_e64 v119, 0, 0x42980000, s0
	s_delay_alu instid0(VALU_DEP_1)
	v_pk_fma_f32 v[14:15], v[14:15], v[118:119], v[48:49]
	v_pk_fma_f32 v[48:49], s[18:19], v[52:53], 1.0 op_sel_hi:[0,1,0] neg_lo:[1,0,0] neg_hi:[1,0,0]
	v_cndmask_b32_e64 v119, 0, 1.0, s3
	v_cndmask_b32_e64 v118, 0, 1.0, s1
	v_cmp_gt_f32_e64 s1, s31, v53
	v_cmp_gt_f32_e64 s3, s31, v52
	v_cndmask_b32_e64 v49, v49, 1.0, s0
	v_cndmask_b32_e64 v48, v48, 1.0, vcc_lo
	s_and_b32 s1, s30, s1
	s_and_b32 s3, s30, s3
	s_delay_alu instid0(VALU_DEP_1) | instskip(NEXT) | instid1(VALU_DEP_1)
	v_pk_mul_f32 v[48:49], v[118:119], v[48:49]
	v_pk_mul_f32 v[48:49], v[100:101], v[48:49] op_sel_hi:[0,1]
	s_delay_alu instid0(VALU_DEP_1) | instskip(NEXT) | instid1(VALU_DEP_2)
	v_cndmask_b32_e64 v49, v49, -|v49|, s33
	v_cndmask_b32_e64 v48, v48, -|v48|, s33
	s_delay_alu instid0(VALU_DEP_1) | instskip(SKIP_3) | instid1(VALU_DEP_3)
	v_pk_fma_f32 v[14:15], v[48:49], s[12:13], v[14:15] op_sel_hi:[1,0,1]
	v_pk_fma_f32 v[48:49], v[98:99], v[52:53], 1.0 op_sel_hi:[0,1,0] neg_lo:[1,0,0] neg_hi:[1,0,0]
	v_cndmask_b32_e64 v53, 0, 1.0, s1
	v_cndmask_b32_e64 v52, 0, 1.0, s3
	;; [unrolled: 1-line block ×3, first 2 shown]
	s_delay_alu instid0(VALU_DEP_4) | instskip(NEXT) | instid1(VALU_DEP_3)
	v_cndmask_b32_e64 v48, v48, 1.0, vcc_lo
	v_pk_mul_f32 v[52:53], s[16:17], v[52:53] op_sel_hi:[0,1]
	s_delay_alu instid0(VALU_DEP_1) | instskip(SKIP_3) | instid1(VALU_DEP_1)
	v_pk_fma_f32 v[48:49], v[48:49], v[52:53], v[14:15]
	scratch_load_b64 v[14:15], off, off offset:3808 ; 8-byte Folded Reload
	s_wait_loadcnt 0x0
	v_pk_add_f32 v[14:15], v[14:15], v[16:17] neg_lo:[0,1] neg_hi:[0,1]
	v_pk_mul_f32 v[14:15], v[14:15], v[14:15]
	s_delay_alu instid0(VALU_DEP_1) | instskip(NEXT) | instid1(VALU_DEP_1)
	v_fma_f32 v14, v37, v37, v14
	v_add_f32_e32 v14, v14, v15
	s_delay_alu instid0(VALU_DEP_1) | instskip(SKIP_1) | instid1(VALU_DEP_1)
	v_cmp_gt_f32_e32 vcc_lo, 0xf800000, v14
	v_mul_f32_e32 v15, 0x4f800000, v14
	v_cndmask_b32_e32 v14, v14, v15, vcc_lo
	s_delay_alu instid0(VALU_DEP_1) | instskip(SKIP_1) | instid1(TRANS32_DEP_1)
	v_sqrt_f32_e32 v15, v14
	v_nop
	v_add_nc_u32_e32 v37, -1, v15
	s_delay_alu instid0(VALU_DEP_1) | instskip(NEXT) | instid1(VALU_DEP_1)
	v_fma_f32 v52, -v37, v15, v14
	v_cmp_ge_f32_e64 s0, 0, v52
	s_delay_alu instid0(VALU_DEP_1) | instskip(NEXT) | instid1(VALU_DEP_1)
	v_dual_add_nc_u32 v52, 1, v15 :: v_dual_cndmask_b32 v37, v15, v37, s0
	v_fma_f32 v15, -v52, v15, v14
	s_delay_alu instid0(VALU_DEP_1) | instskip(NEXT) | instid1(VALU_DEP_1)
	v_cmp_lt_f32_e64 s0, 0, v15
	v_cndmask_b32_e64 v15, v37, v52, s0
	s_delay_alu instid0(VALU_DEP_1) | instskip(NEXT) | instid1(VALU_DEP_1)
	v_mul_f32_e32 v37, 0x37800000, v15
	v_cndmask_b32_e32 v15, v15, v37, vcc_lo
	v_cmp_class_f32_e64 vcc_lo, v14, 0x260
	v_sub_f32_e32 v37, v47, v117
	s_delay_alu instid0(VALU_DEP_3) | instskip(SKIP_3) | instid1(VALU_DEP_1)
	v_cndmask_b32_e32 v118, v15, v14, vcc_lo
	scratch_load_b64 v[14:15], off, off offset:3816 ; 8-byte Folded Reload
	s_wait_loadcnt 0x0
	v_pk_add_f32 v[14:15], v[14:15], v[16:17] neg_lo:[0,1] neg_hi:[0,1]
	v_pk_mul_f32 v[14:15], v[14:15], v[14:15]
	s_delay_alu instid0(VALU_DEP_1) | instskip(NEXT) | instid1(VALU_DEP_1)
	v_fma_f32 v14, v37, v37, v14
	v_add_f32_e32 v14, v14, v15
	s_delay_alu instid0(VALU_DEP_1) | instskip(SKIP_1) | instid1(VALU_DEP_1)
	v_cmp_gt_f32_e32 vcc_lo, 0xf800000, v14
	v_mul_f32_e32 v15, 0x4f800000, v14
	v_cndmask_b32_e32 v14, v14, v15, vcc_lo
	s_delay_alu instid0(VALU_DEP_1) | instskip(SKIP_1) | instid1(TRANS32_DEP_1)
	v_sqrt_f32_e32 v15, v14
	v_nop
	v_add_nc_u32_e32 v37, -1, v15
	s_delay_alu instid0(VALU_DEP_1) | instskip(NEXT) | instid1(VALU_DEP_1)
	v_fma_f32 v52, -v37, v15, v14
	v_cmp_ge_f32_e64 s0, 0, v52
	s_delay_alu instid0(VALU_DEP_1) | instskip(NEXT) | instid1(VALU_DEP_1)
	v_dual_add_nc_u32 v52, 1, v15 :: v_dual_cndmask_b32 v37, v15, v37, s0
	v_fma_f32 v15, -v52, v15, v14
	s_delay_alu instid0(VALU_DEP_1) | instskip(NEXT) | instid1(VALU_DEP_1)
	v_cmp_lt_f32_e64 s0, 0, v15
	v_cndmask_b32_e64 v15, v37, v52, s0
	s_delay_alu instid0(VALU_DEP_1) | instskip(NEXT) | instid1(VALU_DEP_1)
	v_mul_f32_e32 v37, 0x37800000, v15
	v_cndmask_b32_e32 v15, v15, v37, vcc_lo
	v_cmp_class_f32_e64 vcc_lo, v14, 0x260
	s_delay_alu instid0(VALU_DEP_1) | instskip(NEXT) | instid1(VALU_DEP_1)
	v_dual_sub_f32 v37, v54, v117 :: v_dual_cndmask_b32 v119, v15, v14, vcc_lo
	v_pk_add_f32 v[14:15], v[118:119], v[110:111] op_sel_hi:[1,0] neg_lo:[0,1] neg_hi:[0,1]
	v_pk_fma_f32 v[52:53], v[108:109], v[118:119], 1.0 op_sel_hi:[0,1,0] neg_lo:[1,0,0] neg_hi:[1,0,0]
	s_delay_alu instid0(VALU_DEP_2) | instskip(NEXT) | instid1(VALU_DEP_3)
	v_cmp_gt_f32_e32 vcc_lo, 0, v14
	v_cmp_gt_f32_e64 s0, 0, v15
	v_cmp_gt_f32_e64 s1, s34, v14
	;; [unrolled: 1-line block ×3, first 2 shown]
	v_cndmask_b32_e64 v118, 0, 0x42980000, vcc_lo
	s_delay_alu instid0(VALU_DEP_4) | instskip(NEXT) | instid1(VALU_DEP_1)
	v_cndmask_b32_e64 v119, 0, 0x42980000, s0
	v_pk_fma_f32 v[50:51], v[52:53], v[118:119], v[50:51]
	v_pk_fma_f32 v[52:53], s[18:19], v[14:15], 1.0 op_sel_hi:[0,1,0] neg_lo:[1,0,0] neg_hi:[1,0,0]
	v_cndmask_b32_e64 v119, 0, 1.0, s3
	v_cndmask_b32_e64 v118, 0, 1.0, s1
	v_cmp_gt_f32_e64 s1, s31, v15
	v_cmp_gt_f32_e64 s3, s31, v14
	v_cndmask_b32_e64 v53, v53, 1.0, s0
	v_cndmask_b32_e64 v52, v52, 1.0, vcc_lo
	s_and_b32 s1, s30, s1
	s_and_b32 s3, s30, s3
	s_delay_alu instid0(VALU_DEP_1) | instskip(NEXT) | instid1(VALU_DEP_1)
	v_pk_mul_f32 v[52:53], v[118:119], v[52:53]
	v_pk_mul_f32 v[52:53], v[100:101], v[52:53] op_sel_hi:[0,1]
	s_delay_alu instid0(VALU_DEP_1) | instskip(NEXT) | instid1(VALU_DEP_2)
	v_cndmask_b32_e64 v53, v53, -|v53|, s33
	v_cndmask_b32_e64 v52, v52, -|v52|, s33
	s_delay_alu instid0(VALU_DEP_1) | instskip(SKIP_3) | instid1(VALU_DEP_3)
	v_pk_fma_f32 v[50:51], v[52:53], s[12:13], v[50:51] op_sel_hi:[1,0,1]
	v_pk_fma_f32 v[52:53], v[98:99], v[14:15], 1.0 op_sel_hi:[0,1,0] neg_lo:[1,0,0] neg_hi:[1,0,0]
	v_cndmask_b32_e64 v15, 0, 1.0, s1
	v_cndmask_b32_e64 v14, 0, 1.0, s3
	v_cndmask_b32_e64 v53, v53, 1.0, s0
	s_delay_alu instid0(VALU_DEP_4) | instskip(NEXT) | instid1(VALU_DEP_3)
	v_cndmask_b32_e64 v52, v52, 1.0, vcc_lo
	v_pk_mul_f32 v[14:15], s[16:17], v[14:15] op_sel_hi:[0,1]
	s_delay_alu instid0(VALU_DEP_1) | instskip(SKIP_3) | instid1(VALU_DEP_1)
	v_pk_fma_f32 v[50:51], v[52:53], v[14:15], v[50:51]
	scratch_load_b64 v[14:15], off, off offset:3824 ; 8-byte Folded Reload
	s_wait_loadcnt 0x0
	v_pk_add_f32 v[14:15], v[14:15], v[16:17] neg_lo:[0,1] neg_hi:[0,1]
	v_pk_mul_f32 v[14:15], v[14:15], v[14:15]
	s_delay_alu instid0(VALU_DEP_1) | instskip(NEXT) | instid1(VALU_DEP_1)
	v_fma_f32 v14, v37, v37, v14
	v_add_f32_e32 v14, v14, v15
	s_delay_alu instid0(VALU_DEP_1) | instskip(SKIP_1) | instid1(VALU_DEP_1)
	v_cmp_gt_f32_e32 vcc_lo, 0xf800000, v14
	v_mul_f32_e32 v15, 0x4f800000, v14
	v_cndmask_b32_e32 v14, v14, v15, vcc_lo
	s_delay_alu instid0(VALU_DEP_1) | instskip(SKIP_1) | instid1(TRANS32_DEP_1)
	v_sqrt_f32_e32 v15, v14
	v_nop
	v_add_nc_u32_e32 v37, -1, v15
	s_delay_alu instid0(VALU_DEP_1) | instskip(NEXT) | instid1(VALU_DEP_1)
	v_fma_f32 v52, -v37, v15, v14
	v_cmp_ge_f32_e64 s0, 0, v52
	s_delay_alu instid0(VALU_DEP_1) | instskip(NEXT) | instid1(VALU_DEP_1)
	v_dual_add_nc_u32 v52, 1, v15 :: v_dual_cndmask_b32 v37, v15, v37, s0
	v_fma_f32 v15, -v52, v15, v14
	s_delay_alu instid0(VALU_DEP_1) | instskip(NEXT) | instid1(VALU_DEP_1)
	v_cmp_lt_f32_e64 s0, 0, v15
	v_cndmask_b32_e64 v15, v37, v52, s0
	scratch_load_b64 v[52:53], off, off offset:3832 ; 8-byte Folded Reload
	v_mul_f32_e32 v37, 0x37800000, v15
	s_delay_alu instid0(VALU_DEP_1) | instskip(SKIP_3) | instid1(VALU_DEP_1)
	v_cndmask_b32_e32 v15, v15, v37, vcc_lo
	v_cmp_class_f32_e64 vcc_lo, v14, 0x260
	s_wait_loadcnt 0x0
	v_pk_add_f32 v[52:53], v[52:53], v[16:17] neg_lo:[0,1] neg_hi:[0,1]
	v_pk_mul_f32 v[52:53], v[52:53], v[52:53]
	v_cndmask_b32_e32 v14, v15, v14, vcc_lo
	v_sub_f32_e32 v15, v55, v117
	s_delay_alu instid0(VALU_DEP_1) | instskip(NEXT) | instid1(VALU_DEP_1)
	v_fma_f32 v15, v15, v15, v52
	v_add_f32_e32 v15, v15, v53
	s_delay_alu instid0(VALU_DEP_1) | instskip(SKIP_1) | instid1(VALU_DEP_1)
	v_cmp_gt_f32_e32 vcc_lo, 0xf800000, v15
	v_mul_f32_e32 v37, 0x4f800000, v15
	v_cndmask_b32_e32 v15, v15, v37, vcc_lo
	s_delay_alu instid0(VALU_DEP_1) | instskip(SKIP_1) | instid1(TRANS32_DEP_1)
	v_sqrt_f32_e32 v37, v15
	v_nop
	v_add_nc_u32_e32 v52, -1, v37
	s_delay_alu instid0(VALU_DEP_1) | instskip(NEXT) | instid1(VALU_DEP_1)
	v_fma_f32 v53, -v52, v37, v15
	v_cmp_ge_f32_e64 s0, 0, v53
	s_delay_alu instid0(VALU_DEP_1) | instskip(NEXT) | instid1(VALU_DEP_1)
	v_dual_add_nc_u32 v53, 1, v37 :: v_dual_cndmask_b32 v52, v37, v52, s0
	v_fma_f32 v37, -v53, v37, v15
	s_delay_alu instid0(VALU_DEP_1) | instskip(NEXT) | instid1(VALU_DEP_1)
	v_cmp_lt_f32_e64 s0, 0, v37
	v_cndmask_b32_e64 v37, v52, v53, s0
	s_delay_alu instid0(VALU_DEP_1) | instskip(NEXT) | instid1(VALU_DEP_1)
	v_mul_f32_e32 v52, 0x37800000, v37
	v_cndmask_b32_e32 v37, v37, v52, vcc_lo
	v_cmp_class_f32_e64 vcc_lo, v15, 0x260
	s_delay_alu instid0(VALU_DEP_1) | instskip(NEXT) | instid1(VALU_DEP_1)
	v_dual_cndmask_b32 v15, v37, v15, vcc_lo :: v_dual_sub_f32 v37, v82, v117
	v_pk_add_f32 v[52:53], v[14:15], v[110:111] op_sel_hi:[1,0] neg_lo:[0,1] neg_hi:[0,1]
	v_pk_fma_f32 v[14:15], v[108:109], v[14:15], 1.0 op_sel_hi:[0,1,0] neg_lo:[1,0,0] neg_hi:[1,0,0]
	s_delay_alu instid0(VALU_DEP_2) | instskip(NEXT) | instid1(VALU_DEP_3)
	v_cmp_gt_f32_e32 vcc_lo, 0, v52
	v_cmp_gt_f32_e64 s0, 0, v53
	v_cmp_gt_f32_e64 s1, s34, v52
	;; [unrolled: 1-line block ×3, first 2 shown]
	v_cndmask_b32_e64 v118, 0, 0x42980000, vcc_lo
	s_delay_alu instid0(VALU_DEP_4) | instskip(NEXT) | instid1(VALU_DEP_1)
	v_cndmask_b32_e64 v119, 0, 0x42980000, s0
	v_pk_fma_f32 v[14:15], v[14:15], v[118:119], v[28:29]
	v_pk_fma_f32 v[28:29], s[18:19], v[52:53], 1.0 op_sel_hi:[0,1,0] neg_lo:[1,0,0] neg_hi:[1,0,0]
	v_cndmask_b32_e64 v119, 0, 1.0, s3
	v_cndmask_b32_e64 v118, 0, 1.0, s1
	v_cmp_gt_f32_e64 s1, s31, v53
	v_cmp_gt_f32_e64 s3, s31, v52
	v_cndmask_b32_e64 v29, v29, 1.0, s0
	v_cndmask_b32_e64 v28, v28, 1.0, vcc_lo
	s_and_b32 s1, s30, s1
	s_and_b32 s3, s30, s3
	s_delay_alu instid0(VALU_DEP_1) | instskip(NEXT) | instid1(VALU_DEP_1)
	v_pk_mul_f32 v[28:29], v[118:119], v[28:29]
	v_pk_mul_f32 v[28:29], v[100:101], v[28:29] op_sel_hi:[0,1]
	s_delay_alu instid0(VALU_DEP_1) | instskip(NEXT) | instid1(VALU_DEP_2)
	v_cndmask_b32_e64 v29, v29, -|v29|, s33
	v_cndmask_b32_e64 v28, v28, -|v28|, s33
	s_delay_alu instid0(VALU_DEP_1) | instskip(SKIP_3) | instid1(VALU_DEP_3)
	v_pk_fma_f32 v[14:15], v[28:29], s[12:13], v[14:15] op_sel_hi:[1,0,1]
	v_pk_fma_f32 v[28:29], v[98:99], v[52:53], 1.0 op_sel_hi:[0,1,0] neg_lo:[1,0,0] neg_hi:[1,0,0]
	v_cndmask_b32_e64 v53, 0, 1.0, s1
	v_cndmask_b32_e64 v52, 0, 1.0, s3
	;; [unrolled: 1-line block ×3, first 2 shown]
	s_delay_alu instid0(VALU_DEP_4) | instskip(NEXT) | instid1(VALU_DEP_3)
	v_cndmask_b32_e64 v28, v28, 1.0, vcc_lo
	v_pk_mul_f32 v[52:53], s[16:17], v[52:53] op_sel_hi:[0,1]
	s_delay_alu instid0(VALU_DEP_1) | instskip(SKIP_3) | instid1(VALU_DEP_1)
	v_pk_fma_f32 v[28:29], v[28:29], v[52:53], v[14:15]
	scratch_load_b64 v[14:15], off, off offset:3840 ; 8-byte Folded Reload
	s_wait_loadcnt 0x0
	v_pk_add_f32 v[14:15], v[14:15], v[16:17] neg_lo:[0,1] neg_hi:[0,1]
	v_pk_mul_f32 v[14:15], v[14:15], v[14:15]
	s_delay_alu instid0(VALU_DEP_1) | instskip(NEXT) | instid1(VALU_DEP_1)
	v_fma_f32 v14, v37, v37, v14
	v_add_f32_e32 v14, v14, v15
	s_delay_alu instid0(VALU_DEP_1) | instskip(SKIP_1) | instid1(VALU_DEP_1)
	v_cmp_gt_f32_e32 vcc_lo, 0xf800000, v14
	v_mul_f32_e32 v15, 0x4f800000, v14
	v_cndmask_b32_e32 v14, v14, v15, vcc_lo
	s_delay_alu instid0(VALU_DEP_1) | instskip(SKIP_1) | instid1(TRANS32_DEP_1)
	v_sqrt_f32_e32 v15, v14
	v_nop
	v_add_nc_u32_e32 v37, -1, v15
	s_delay_alu instid0(VALU_DEP_1) | instskip(NEXT) | instid1(VALU_DEP_1)
	v_fma_f32 v52, -v37, v15, v14
	v_cmp_ge_f32_e64 s0, 0, v52
	s_delay_alu instid0(VALU_DEP_1) | instskip(NEXT) | instid1(VALU_DEP_1)
	v_dual_add_nc_u32 v52, 1, v15 :: v_dual_cndmask_b32 v37, v15, v37, s0
	v_fma_f32 v15, -v52, v15, v14
	s_delay_alu instid0(VALU_DEP_1) | instskip(NEXT) | instid1(VALU_DEP_1)
	v_cmp_lt_f32_e64 s0, 0, v15
	v_cndmask_b32_e64 v15, v37, v52, s0
	s_delay_alu instid0(VALU_DEP_1) | instskip(NEXT) | instid1(VALU_DEP_1)
	v_mul_f32_e32 v37, 0x37800000, v15
	v_cndmask_b32_e32 v15, v15, v37, vcc_lo
	v_cmp_class_f32_e64 vcc_lo, v14, 0x260
	v_sub_f32_e32 v37, v83, v117
	s_delay_alu instid0(VALU_DEP_3) | instskip(SKIP_3) | instid1(VALU_DEP_1)
	v_cndmask_b32_e32 v118, v15, v14, vcc_lo
	scratch_load_b64 v[14:15], off, off offset:3848 ; 8-byte Folded Reload
	s_wait_loadcnt 0x0
	v_pk_add_f32 v[14:15], v[14:15], v[16:17] neg_lo:[0,1] neg_hi:[0,1]
	v_pk_mul_f32 v[14:15], v[14:15], v[14:15]
	s_delay_alu instid0(VALU_DEP_1) | instskip(NEXT) | instid1(VALU_DEP_1)
	v_fma_f32 v14, v37, v37, v14
	v_add_f32_e32 v14, v14, v15
	s_delay_alu instid0(VALU_DEP_1) | instskip(SKIP_1) | instid1(VALU_DEP_1)
	v_cmp_gt_f32_e32 vcc_lo, 0xf800000, v14
	v_mul_f32_e32 v15, 0x4f800000, v14
	v_cndmask_b32_e32 v14, v14, v15, vcc_lo
	s_delay_alu instid0(VALU_DEP_1) | instskip(SKIP_1) | instid1(TRANS32_DEP_1)
	v_sqrt_f32_e32 v15, v14
	v_nop
	v_add_nc_u32_e32 v37, -1, v15
	s_delay_alu instid0(VALU_DEP_1) | instskip(NEXT) | instid1(VALU_DEP_1)
	v_fma_f32 v52, -v37, v15, v14
	v_cmp_ge_f32_e64 s0, 0, v52
	s_delay_alu instid0(VALU_DEP_1) | instskip(NEXT) | instid1(VALU_DEP_1)
	v_dual_add_nc_u32 v52, 1, v15 :: v_dual_cndmask_b32 v37, v15, v37, s0
	v_fma_f32 v15, -v52, v15, v14
	s_delay_alu instid0(VALU_DEP_1) | instskip(NEXT) | instid1(VALU_DEP_1)
	v_cmp_lt_f32_e64 s0, 0, v15
	v_cndmask_b32_e64 v15, v37, v52, s0
	s_delay_alu instid0(VALU_DEP_1) | instskip(NEXT) | instid1(VALU_DEP_1)
	v_mul_f32_e32 v37, 0x37800000, v15
	v_cndmask_b32_e32 v15, v15, v37, vcc_lo
	v_cmp_class_f32_e64 vcc_lo, v14, 0x260
	s_delay_alu instid0(VALU_DEP_1) | instskip(NEXT) | instid1(VALU_DEP_1)
	v_dual_sub_f32 v37, v0, v117 :: v_dual_cndmask_b32 v119, v15, v14, vcc_lo
	v_pk_add_f32 v[14:15], v[118:119], v[110:111] op_sel_hi:[1,0] neg_lo:[0,1] neg_hi:[0,1]
	v_pk_fma_f32 v[52:53], v[108:109], v[118:119], 1.0 op_sel_hi:[0,1,0] neg_lo:[1,0,0] neg_hi:[1,0,0]
	s_delay_alu instid0(VALU_DEP_2) | instskip(NEXT) | instid1(VALU_DEP_3)
	v_cmp_gt_f32_e32 vcc_lo, 0, v14
	v_cmp_gt_f32_e64 s0, 0, v15
	v_cmp_gt_f32_e64 s1, s34, v14
	;; [unrolled: 1-line block ×3, first 2 shown]
	v_cndmask_b32_e64 v118, 0, 0x42980000, vcc_lo
	s_delay_alu instid0(VALU_DEP_4) | instskip(NEXT) | instid1(VALU_DEP_1)
	v_cndmask_b32_e64 v119, 0, 0x42980000, s0
	v_pk_fma_f32 v[30:31], v[52:53], v[118:119], v[30:31]
	v_pk_fma_f32 v[52:53], s[18:19], v[14:15], 1.0 op_sel_hi:[0,1,0] neg_lo:[1,0,0] neg_hi:[1,0,0]
	v_cndmask_b32_e64 v119, 0, 1.0, s3
	v_cndmask_b32_e64 v118, 0, 1.0, s1
	v_cmp_gt_f32_e64 s1, s31, v15
	v_cmp_gt_f32_e64 s3, s31, v14
	v_cndmask_b32_e64 v53, v53, 1.0, s0
	v_cndmask_b32_e64 v52, v52, 1.0, vcc_lo
	s_and_b32 s1, s30, s1
	s_and_b32 s3, s30, s3
	s_delay_alu instid0(VALU_DEP_1) | instskip(NEXT) | instid1(VALU_DEP_1)
	v_pk_mul_f32 v[52:53], v[118:119], v[52:53]
	v_pk_mul_f32 v[52:53], v[100:101], v[52:53] op_sel_hi:[0,1]
	s_delay_alu instid0(VALU_DEP_1) | instskip(NEXT) | instid1(VALU_DEP_2)
	v_cndmask_b32_e64 v53, v53, -|v53|, s33
	v_cndmask_b32_e64 v52, v52, -|v52|, s33
	s_delay_alu instid0(VALU_DEP_1) | instskip(SKIP_3) | instid1(VALU_DEP_3)
	v_pk_fma_f32 v[30:31], v[52:53], s[12:13], v[30:31] op_sel_hi:[1,0,1]
	v_pk_fma_f32 v[52:53], v[98:99], v[14:15], 1.0 op_sel_hi:[0,1,0] neg_lo:[1,0,0] neg_hi:[1,0,0]
	v_cndmask_b32_e64 v15, 0, 1.0, s1
	v_cndmask_b32_e64 v14, 0, 1.0, s3
	;; [unrolled: 1-line block ×3, first 2 shown]
	s_delay_alu instid0(VALU_DEP_4) | instskip(NEXT) | instid1(VALU_DEP_3)
	v_cndmask_b32_e64 v52, v52, 1.0, vcc_lo
	v_pk_mul_f32 v[14:15], s[16:17], v[14:15] op_sel_hi:[0,1]
	s_delay_alu instid0(VALU_DEP_1) | instskip(SKIP_3) | instid1(VALU_DEP_1)
	v_pk_fma_f32 v[30:31], v[52:53], v[14:15], v[30:31]
	scratch_load_b64 v[14:15], off, off offset:3856 ; 8-byte Folded Reload
	s_wait_loadcnt 0x0
	v_pk_add_f32 v[14:15], v[14:15], v[16:17] neg_lo:[0,1] neg_hi:[0,1]
	v_pk_mul_f32 v[14:15], v[14:15], v[14:15]
	s_delay_alu instid0(VALU_DEP_1) | instskip(NEXT) | instid1(VALU_DEP_1)
	v_fma_f32 v14, v37, v37, v14
	v_add_f32_e32 v14, v14, v15
	s_delay_alu instid0(VALU_DEP_1) | instskip(SKIP_1) | instid1(VALU_DEP_1)
	v_cmp_gt_f32_e32 vcc_lo, 0xf800000, v14
	v_mul_f32_e32 v15, 0x4f800000, v14
	v_cndmask_b32_e32 v14, v14, v15, vcc_lo
	s_delay_alu instid0(VALU_DEP_1) | instskip(SKIP_1) | instid1(TRANS32_DEP_1)
	v_sqrt_f32_e32 v15, v14
	v_nop
	v_add_nc_u32_e32 v37, -1, v15
	s_delay_alu instid0(VALU_DEP_1) | instskip(NEXT) | instid1(VALU_DEP_1)
	v_fma_f32 v52, -v37, v15, v14
	v_cmp_ge_f32_e64 s0, 0, v52
	s_delay_alu instid0(VALU_DEP_1) | instskip(NEXT) | instid1(VALU_DEP_1)
	v_dual_add_nc_u32 v52, 1, v15 :: v_dual_cndmask_b32 v37, v15, v37, s0
	v_fma_f32 v15, -v52, v15, v14
	s_delay_alu instid0(VALU_DEP_1) | instskip(NEXT) | instid1(VALU_DEP_1)
	v_cmp_lt_f32_e64 s0, 0, v15
	v_cndmask_b32_e64 v15, v37, v52, s0
	scratch_load_b64 v[52:53], off, off offset:3864 ; 8-byte Folded Reload
	v_mul_f32_e32 v37, 0x37800000, v15
	s_delay_alu instid0(VALU_DEP_1) | instskip(SKIP_1) | instid1(VALU_DEP_2)
	v_cndmask_b32_e32 v15, v15, v37, vcc_lo
	v_cmp_class_f32_e64 vcc_lo, v14, 0x260
	v_dual_cndmask_b32 v14, v15, v14 :: v_dual_sub_f32 v15, v1, v117
	s_wait_loadcnt 0x0
	v_pk_add_f32 v[52:53], v[52:53], v[16:17] neg_lo:[0,1] neg_hi:[0,1]
	s_delay_alu instid0(VALU_DEP_1) | instskip(NEXT) | instid1(VALU_DEP_1)
	v_pk_mul_f32 v[52:53], v[52:53], v[52:53]
	v_fma_f32 v15, v15, v15, v52
	s_delay_alu instid0(VALU_DEP_1) | instskip(NEXT) | instid1(VALU_DEP_1)
	v_add_f32_e32 v15, v15, v53
	v_cmp_gt_f32_e32 vcc_lo, 0xf800000, v15
	v_mul_f32_e32 v37, 0x4f800000, v15
	s_delay_alu instid0(VALU_DEP_1) | instskip(NEXT) | instid1(VALU_DEP_1)
	v_cndmask_b32_e32 v15, v15, v37, vcc_lo
	v_sqrt_f32_e32 v37, v15
	v_nop
	s_delay_alu instid0(TRANS32_DEP_1) | instskip(NEXT) | instid1(VALU_DEP_1)
	v_add_nc_u32_e32 v52, -1, v37
	v_fma_f32 v53, -v52, v37, v15
	s_delay_alu instid0(VALU_DEP_1) | instskip(NEXT) | instid1(VALU_DEP_1)
	v_cmp_ge_f32_e64 s0, 0, v53
	v_dual_add_nc_u32 v53, 1, v37 :: v_dual_cndmask_b32 v52, v37, v52, s0
	s_delay_alu instid0(VALU_DEP_1) | instskip(NEXT) | instid1(VALU_DEP_1)
	v_fma_f32 v37, -v53, v37, v15
	v_cmp_lt_f32_e64 s0, 0, v37
	s_delay_alu instid0(VALU_DEP_1) | instskip(NEXT) | instid1(VALU_DEP_1)
	v_cndmask_b32_e64 v37, v52, v53, s0
	v_mul_f32_e32 v52, 0x37800000, v37
	s_delay_alu instid0(VALU_DEP_1) | instskip(SKIP_1) | instid1(VALU_DEP_1)
	v_cndmask_b32_e32 v37, v37, v52, vcc_lo
	v_cmp_class_f32_e64 vcc_lo, v15, 0x260
	v_dual_cndmask_b32 v15, v37, v15, vcc_lo :: v_dual_sub_f32 v37, v2, v117
	s_delay_alu instid0(VALU_DEP_1) | instskip(SKIP_1) | instid1(VALU_DEP_2)
	v_pk_add_f32 v[52:53], v[14:15], v[110:111] op_sel_hi:[1,0] neg_lo:[0,1] neg_hi:[0,1]
	v_pk_fma_f32 v[14:15], v[108:109], v[14:15], 1.0 op_sel_hi:[0,1,0] neg_lo:[1,0,0] neg_hi:[1,0,0]
	v_cmp_gt_f32_e32 vcc_lo, 0, v52
	s_delay_alu instid0(VALU_DEP_3) | instskip(SKIP_3) | instid1(VALU_DEP_4)
	v_cmp_gt_f32_e64 s0, 0, v53
	v_cmp_gt_f32_e64 s1, s34, v52
	;; [unrolled: 1-line block ×3, first 2 shown]
	v_cndmask_b32_e64 v118, 0, 0x42980000, vcc_lo
	v_cndmask_b32_e64 v119, 0, 0x42980000, s0
	s_delay_alu instid0(VALU_DEP_1)
	v_pk_fma_f32 v[14:15], v[14:15], v[118:119], v[64:65]
	v_pk_fma_f32 v[64:65], s[18:19], v[52:53], 1.0 op_sel_hi:[0,1,0] neg_lo:[1,0,0] neg_hi:[1,0,0]
	v_cndmask_b32_e64 v119, 0, 1.0, s3
	v_cndmask_b32_e64 v118, 0, 1.0, s1
	v_cmp_gt_f32_e64 s1, s31, v53
	v_cmp_gt_f32_e64 s3, s31, v52
	v_cndmask_b32_e64 v65, v65, 1.0, s0
	v_cndmask_b32_e64 v64, v64, 1.0, vcc_lo
	s_and_b32 s1, s30, s1
	s_and_b32 s3, s30, s3
	s_delay_alu instid0(VALU_DEP_1) | instskip(NEXT) | instid1(VALU_DEP_1)
	v_pk_mul_f32 v[64:65], v[118:119], v[64:65]
	v_pk_mul_f32 v[64:65], v[100:101], v[64:65] op_sel_hi:[0,1]
	s_delay_alu instid0(VALU_DEP_1) | instskip(NEXT) | instid1(VALU_DEP_2)
	v_cndmask_b32_e64 v65, v65, -|v65|, s33
	v_cndmask_b32_e64 v64, v64, -|v64|, s33
	s_delay_alu instid0(VALU_DEP_1) | instskip(SKIP_3) | instid1(VALU_DEP_3)
	v_pk_fma_f32 v[14:15], v[64:65], s[12:13], v[14:15] op_sel_hi:[1,0,1]
	v_pk_fma_f32 v[64:65], v[98:99], v[52:53], 1.0 op_sel_hi:[0,1,0] neg_lo:[1,0,0] neg_hi:[1,0,0]
	v_cndmask_b32_e64 v53, 0, 1.0, s1
	v_cndmask_b32_e64 v52, 0, 1.0, s3
	;; [unrolled: 1-line block ×3, first 2 shown]
	s_delay_alu instid0(VALU_DEP_4) | instskip(NEXT) | instid1(VALU_DEP_3)
	v_cndmask_b32_e64 v64, v64, 1.0, vcc_lo
	v_pk_mul_f32 v[52:53], s[16:17], v[52:53] op_sel_hi:[0,1]
	s_delay_alu instid0(VALU_DEP_1) | instskip(SKIP_3) | instid1(VALU_DEP_1)
	v_pk_fma_f32 v[64:65], v[64:65], v[52:53], v[14:15]
	scratch_load_b64 v[14:15], off, off offset:3872 ; 8-byte Folded Reload
	s_wait_loadcnt 0x0
	v_pk_add_f32 v[14:15], v[14:15], v[16:17] neg_lo:[0,1] neg_hi:[0,1]
	v_pk_mul_f32 v[14:15], v[14:15], v[14:15]
	s_delay_alu instid0(VALU_DEP_1) | instskip(NEXT) | instid1(VALU_DEP_1)
	v_fma_f32 v14, v37, v37, v14
	v_add_f32_e32 v14, v14, v15
	s_delay_alu instid0(VALU_DEP_1) | instskip(SKIP_1) | instid1(VALU_DEP_1)
	v_cmp_gt_f32_e32 vcc_lo, 0xf800000, v14
	v_mul_f32_e32 v15, 0x4f800000, v14
	v_cndmask_b32_e32 v14, v14, v15, vcc_lo
	s_delay_alu instid0(VALU_DEP_1) | instskip(SKIP_1) | instid1(TRANS32_DEP_1)
	v_sqrt_f32_e32 v15, v14
	v_nop
	v_add_nc_u32_e32 v37, -1, v15
	s_delay_alu instid0(VALU_DEP_1) | instskip(NEXT) | instid1(VALU_DEP_1)
	v_fma_f32 v52, -v37, v15, v14
	v_cmp_ge_f32_e64 s0, 0, v52
	s_delay_alu instid0(VALU_DEP_1) | instskip(NEXT) | instid1(VALU_DEP_1)
	v_dual_add_nc_u32 v52, 1, v15 :: v_dual_cndmask_b32 v37, v15, v37, s0
	v_fma_f32 v15, -v52, v15, v14
	s_delay_alu instid0(VALU_DEP_1) | instskip(NEXT) | instid1(VALU_DEP_1)
	v_cmp_lt_f32_e64 s0, 0, v15
	v_cndmask_b32_e64 v15, v37, v52, s0
	s_delay_alu instid0(VALU_DEP_1) | instskip(NEXT) | instid1(VALU_DEP_1)
	v_mul_f32_e32 v37, 0x37800000, v15
	v_cndmask_b32_e32 v15, v15, v37, vcc_lo
	v_cmp_class_f32_e64 vcc_lo, v14, 0x260
	v_sub_f32_e32 v37, v3, v117
	s_delay_alu instid0(VALU_DEP_3) | instskip(SKIP_3) | instid1(VALU_DEP_1)
	v_cndmask_b32_e32 v118, v15, v14, vcc_lo
	scratch_load_b64 v[14:15], off, off offset:3880 ; 8-byte Folded Reload
	s_wait_loadcnt 0x0
	v_pk_add_f32 v[14:15], v[14:15], v[16:17] neg_lo:[0,1] neg_hi:[0,1]
	v_pk_mul_f32 v[14:15], v[14:15], v[14:15]
	s_delay_alu instid0(VALU_DEP_1) | instskip(NEXT) | instid1(VALU_DEP_1)
	v_fma_f32 v14, v37, v37, v14
	v_add_f32_e32 v14, v14, v15
	s_delay_alu instid0(VALU_DEP_1) | instskip(SKIP_1) | instid1(VALU_DEP_1)
	v_cmp_gt_f32_e32 vcc_lo, 0xf800000, v14
	v_mul_f32_e32 v15, 0x4f800000, v14
	v_cndmask_b32_e32 v14, v14, v15, vcc_lo
	s_delay_alu instid0(VALU_DEP_1) | instskip(SKIP_1) | instid1(TRANS32_DEP_1)
	v_sqrt_f32_e32 v15, v14
	v_nop
	v_add_nc_u32_e32 v37, -1, v15
	s_delay_alu instid0(VALU_DEP_1) | instskip(NEXT) | instid1(VALU_DEP_1)
	v_fma_f32 v52, -v37, v15, v14
	v_cmp_ge_f32_e64 s0, 0, v52
	s_delay_alu instid0(VALU_DEP_1) | instskip(NEXT) | instid1(VALU_DEP_1)
	v_dual_add_nc_u32 v52, 1, v15 :: v_dual_cndmask_b32 v37, v15, v37, s0
	v_fma_f32 v15, -v52, v15, v14
	s_delay_alu instid0(VALU_DEP_1) | instskip(NEXT) | instid1(VALU_DEP_1)
	v_cmp_lt_f32_e64 s0, 0, v15
	v_cndmask_b32_e64 v15, v37, v52, s0
	s_delay_alu instid0(VALU_DEP_1) | instskip(NEXT) | instid1(VALU_DEP_1)
	v_mul_f32_e32 v37, 0x37800000, v15
	v_cndmask_b32_e32 v15, v15, v37, vcc_lo
	v_cmp_class_f32_e64 vcc_lo, v14, 0x260
	s_delay_alu instid0(VALU_DEP_1) | instskip(NEXT) | instid1(VALU_DEP_1)
	v_dual_sub_f32 v37, v10, v117 :: v_dual_cndmask_b32 v119, v15, v14, vcc_lo
	v_pk_add_f32 v[14:15], v[118:119], v[110:111] op_sel_hi:[1,0] neg_lo:[0,1] neg_hi:[0,1]
	v_pk_fma_f32 v[52:53], v[108:109], v[118:119], 1.0 op_sel_hi:[0,1,0] neg_lo:[1,0,0] neg_hi:[1,0,0]
	s_delay_alu instid0(VALU_DEP_2) | instskip(NEXT) | instid1(VALU_DEP_3)
	v_cmp_gt_f32_e32 vcc_lo, 0, v14
	v_cmp_gt_f32_e64 s0, 0, v15
	v_cmp_gt_f32_e64 s1, s34, v14
	;; [unrolled: 1-line block ×3, first 2 shown]
	v_cndmask_b32_e64 v118, 0, 0x42980000, vcc_lo
	s_delay_alu instid0(VALU_DEP_4) | instskip(NEXT) | instid1(VALU_DEP_1)
	v_cndmask_b32_e64 v119, 0, 0x42980000, s0
	v_pk_fma_f32 v[52:53], v[52:53], v[118:119], v[66:67]
	v_pk_fma_f32 v[66:67], s[18:19], v[14:15], 1.0 op_sel_hi:[0,1,0] neg_lo:[1,0,0] neg_hi:[1,0,0]
	v_cndmask_b32_e64 v119, 0, 1.0, s3
	v_cndmask_b32_e64 v118, 0, 1.0, s1
	v_cmp_gt_f32_e64 s1, s31, v15
	v_cmp_gt_f32_e64 s3, s31, v14
	v_cndmask_b32_e64 v67, v67, 1.0, s0
	v_cndmask_b32_e64 v66, v66, 1.0, vcc_lo
	s_and_b32 s1, s30, s1
	s_and_b32 s3, s30, s3
	s_delay_alu instid0(VALU_DEP_1) | instskip(NEXT) | instid1(VALU_DEP_1)
	v_pk_mul_f32 v[66:67], v[118:119], v[66:67]
	v_pk_mul_f32 v[66:67], v[100:101], v[66:67] op_sel_hi:[0,1]
	s_delay_alu instid0(VALU_DEP_1) | instskip(NEXT) | instid1(VALU_DEP_2)
	v_cndmask_b32_e64 v67, v67, -|v67|, s33
	v_cndmask_b32_e64 v66, v66, -|v66|, s33
	s_delay_alu instid0(VALU_DEP_1) | instskip(SKIP_3) | instid1(VALU_DEP_3)
	v_pk_fma_f32 v[52:53], v[66:67], s[12:13], v[52:53] op_sel_hi:[1,0,1]
	v_pk_fma_f32 v[66:67], v[98:99], v[14:15], 1.0 op_sel_hi:[0,1,0] neg_lo:[1,0,0] neg_hi:[1,0,0]
	v_cndmask_b32_e64 v15, 0, 1.0, s1
	v_cndmask_b32_e64 v14, 0, 1.0, s3
	;; [unrolled: 1-line block ×3, first 2 shown]
	s_delay_alu instid0(VALU_DEP_4) | instskip(NEXT) | instid1(VALU_DEP_3)
	v_cndmask_b32_e64 v66, v66, 1.0, vcc_lo
	v_pk_mul_f32 v[14:15], s[16:17], v[14:15] op_sel_hi:[0,1]
	s_delay_alu instid0(VALU_DEP_1) | instskip(SKIP_3) | instid1(VALU_DEP_1)
	v_pk_fma_f32 v[66:67], v[66:67], v[14:15], v[52:53]
	scratch_load_b64 v[14:15], off, off offset:3888 ; 8-byte Folded Reload
	s_wait_loadcnt 0x0
	v_pk_add_f32 v[14:15], v[14:15], v[16:17] neg_lo:[0,1] neg_hi:[0,1]
	v_pk_mul_f32 v[14:15], v[14:15], v[14:15]
	s_delay_alu instid0(VALU_DEP_1) | instskip(NEXT) | instid1(VALU_DEP_1)
	v_fma_f32 v14, v37, v37, v14
	v_add_f32_e32 v14, v14, v15
	s_delay_alu instid0(VALU_DEP_1) | instskip(SKIP_1) | instid1(VALU_DEP_1)
	v_cmp_gt_f32_e32 vcc_lo, 0xf800000, v14
	v_mul_f32_e32 v15, 0x4f800000, v14
	v_cndmask_b32_e32 v14, v14, v15, vcc_lo
	s_delay_alu instid0(VALU_DEP_1) | instskip(SKIP_1) | instid1(TRANS32_DEP_1)
	v_sqrt_f32_e32 v15, v14
	v_nop
	v_add_nc_u32_e32 v37, -1, v15
	s_delay_alu instid0(VALU_DEP_1) | instskip(NEXT) | instid1(VALU_DEP_1)
	v_fma_f32 v52, -v37, v15, v14
	v_cmp_ge_f32_e64 s0, 0, v52
	s_delay_alu instid0(VALU_DEP_1) | instskip(NEXT) | instid1(VALU_DEP_1)
	v_dual_add_nc_u32 v52, 1, v15 :: v_dual_cndmask_b32 v37, v15, v37, s0
	v_fma_f32 v15, -v52, v15, v14
	s_delay_alu instid0(VALU_DEP_1) | instskip(NEXT) | instid1(VALU_DEP_1)
	v_cmp_lt_f32_e64 s0, 0, v15
	v_cndmask_b32_e64 v15, v37, v52, s0
	scratch_load_b64 v[52:53], off, off offset:3896 ; 8-byte Folded Reload
	v_mul_f32_e32 v37, 0x37800000, v15
	s_delay_alu instid0(VALU_DEP_1) | instskip(SKIP_3) | instid1(VALU_DEP_1)
	v_cndmask_b32_e32 v15, v15, v37, vcc_lo
	v_cmp_class_f32_e64 vcc_lo, v14, 0x260
	s_wait_loadcnt 0x0
	v_pk_add_f32 v[52:53], v[52:53], v[16:17] neg_lo:[0,1] neg_hi:[0,1]
	v_pk_mul_f32 v[52:53], v[52:53], v[52:53]
	v_cndmask_b32_e32 v14, v15, v14, vcc_lo
	v_sub_f32_e32 v15, v11, v117
	s_delay_alu instid0(VALU_DEP_1) | instskip(NEXT) | instid1(VALU_DEP_1)
	v_fma_f32 v15, v15, v15, v52
	v_add_f32_e32 v15, v15, v53
	s_delay_alu instid0(VALU_DEP_1) | instskip(SKIP_1) | instid1(VALU_DEP_1)
	v_cmp_gt_f32_e32 vcc_lo, 0xf800000, v15
	v_mul_f32_e32 v37, 0x4f800000, v15
	v_cndmask_b32_e32 v15, v15, v37, vcc_lo
	s_delay_alu instid0(VALU_DEP_1) | instskip(SKIP_1) | instid1(TRANS32_DEP_1)
	v_sqrt_f32_e32 v37, v15
	v_nop
	v_add_nc_u32_e32 v52, -1, v37
	s_delay_alu instid0(VALU_DEP_1) | instskip(NEXT) | instid1(VALU_DEP_1)
	v_fma_f32 v53, -v52, v37, v15
	v_cmp_ge_f32_e64 s0, 0, v53
	s_delay_alu instid0(VALU_DEP_1) | instskip(NEXT) | instid1(VALU_DEP_1)
	v_dual_add_nc_u32 v53, 1, v37 :: v_dual_cndmask_b32 v52, v37, v52, s0
	v_fma_f32 v37, -v53, v37, v15
	s_delay_alu instid0(VALU_DEP_1) | instskip(NEXT) | instid1(VALU_DEP_1)
	v_cmp_lt_f32_e64 s0, 0, v37
	v_cndmask_b32_e64 v37, v52, v53, s0
	s_delay_alu instid0(VALU_DEP_1) | instskip(NEXT) | instid1(VALU_DEP_1)
	v_mul_f32_e32 v52, 0x37800000, v37
	v_cndmask_b32_e32 v37, v37, v52, vcc_lo
	v_cmp_class_f32_e64 vcc_lo, v15, 0x260
	s_delay_alu instid0(VALU_DEP_1) | instskip(NEXT) | instid1(VALU_DEP_1)
	v_dual_cndmask_b32 v15, v37, v15, vcc_lo :: v_dual_sub_f32 v37, v12, v117
	v_pk_add_f32 v[52:53], v[14:15], v[110:111] op_sel_hi:[1,0] neg_lo:[0,1] neg_hi:[0,1]
	v_pk_fma_f32 v[14:15], v[108:109], v[14:15], 1.0 op_sel_hi:[0,1,0] neg_lo:[1,0,0] neg_hi:[1,0,0]
	s_delay_alu instid0(VALU_DEP_2) | instskip(NEXT) | instid1(VALU_DEP_3)
	v_cmp_gt_f32_e32 vcc_lo, 0, v52
	v_cmp_gt_f32_e64 s0, 0, v53
	v_cmp_gt_f32_e64 s1, s34, v52
	;; [unrolled: 1-line block ×3, first 2 shown]
	v_cndmask_b32_e64 v118, 0, 0x42980000, vcc_lo
	s_delay_alu instid0(VALU_DEP_4) | instskip(NEXT) | instid1(VALU_DEP_1)
	v_cndmask_b32_e64 v119, 0, 0x42980000, s0
	v_pk_fma_f32 v[14:15], v[14:15], v[118:119], v[20:21]
	v_pk_fma_f32 v[20:21], s[18:19], v[52:53], 1.0 op_sel_hi:[0,1,0] neg_lo:[1,0,0] neg_hi:[1,0,0]
	v_cndmask_b32_e64 v119, 0, 1.0, s3
	v_cndmask_b32_e64 v118, 0, 1.0, s1
	v_cmp_gt_f32_e64 s1, s31, v53
	v_cmp_gt_f32_e64 s3, s31, v52
	v_cndmask_b32_e64 v21, v21, 1.0, s0
	v_cndmask_b32_e64 v20, v20, 1.0, vcc_lo
	s_and_b32 s1, s30, s1
	s_and_b32 s3, s30, s3
	s_delay_alu instid0(VALU_DEP_1) | instskip(NEXT) | instid1(VALU_DEP_1)
	v_pk_mul_f32 v[20:21], v[118:119], v[20:21]
	v_pk_mul_f32 v[20:21], v[100:101], v[20:21] op_sel_hi:[0,1]
	s_delay_alu instid0(VALU_DEP_1) | instskip(NEXT) | instid1(VALU_DEP_2)
	v_cndmask_b32_e64 v21, v21, -|v21|, s33
	v_cndmask_b32_e64 v20, v20, -|v20|, s33
	s_delay_alu instid0(VALU_DEP_1) | instskip(SKIP_3) | instid1(VALU_DEP_3)
	v_pk_fma_f32 v[14:15], v[20:21], s[12:13], v[14:15] op_sel_hi:[1,0,1]
	v_pk_fma_f32 v[20:21], v[98:99], v[52:53], 1.0 op_sel_hi:[0,1,0] neg_lo:[1,0,0] neg_hi:[1,0,0]
	v_cndmask_b32_e64 v53, 0, 1.0, s1
	v_cndmask_b32_e64 v52, 0, 1.0, s3
	;; [unrolled: 1-line block ×3, first 2 shown]
	s_delay_alu instid0(VALU_DEP_4) | instskip(NEXT) | instid1(VALU_DEP_3)
	v_cndmask_b32_e64 v20, v20, 1.0, vcc_lo
	v_pk_mul_f32 v[52:53], s[16:17], v[52:53] op_sel_hi:[0,1]
	s_delay_alu instid0(VALU_DEP_1) | instskip(SKIP_3) | instid1(VALU_DEP_1)
	v_pk_fma_f32 v[20:21], v[20:21], v[52:53], v[14:15]
	scratch_load_b64 v[14:15], off, off offset:3904 ; 8-byte Folded Reload
	s_wait_loadcnt 0x0
	v_pk_add_f32 v[14:15], v[14:15], v[16:17] neg_lo:[0,1] neg_hi:[0,1]
	v_pk_mul_f32 v[14:15], v[14:15], v[14:15]
	s_delay_alu instid0(VALU_DEP_1) | instskip(NEXT) | instid1(VALU_DEP_1)
	v_fma_f32 v14, v37, v37, v14
	v_add_f32_e32 v14, v14, v15
	s_delay_alu instid0(VALU_DEP_1) | instskip(SKIP_1) | instid1(VALU_DEP_1)
	v_cmp_gt_f32_e32 vcc_lo, 0xf800000, v14
	v_mul_f32_e32 v15, 0x4f800000, v14
	v_cndmask_b32_e32 v14, v14, v15, vcc_lo
	s_delay_alu instid0(VALU_DEP_1) | instskip(SKIP_1) | instid1(TRANS32_DEP_1)
	v_sqrt_f32_e32 v15, v14
	v_nop
	v_add_nc_u32_e32 v37, -1, v15
	s_delay_alu instid0(VALU_DEP_1) | instskip(NEXT) | instid1(VALU_DEP_1)
	v_fma_f32 v52, -v37, v15, v14
	v_cmp_ge_f32_e64 s0, 0, v52
	s_delay_alu instid0(VALU_DEP_1) | instskip(NEXT) | instid1(VALU_DEP_1)
	v_dual_add_nc_u32 v52, 1, v15 :: v_dual_cndmask_b32 v37, v15, v37, s0
	v_fma_f32 v15, -v52, v15, v14
	s_delay_alu instid0(VALU_DEP_1) | instskip(NEXT) | instid1(VALU_DEP_1)
	v_cmp_lt_f32_e64 s0, 0, v15
	v_cndmask_b32_e64 v15, v37, v52, s0
	s_delay_alu instid0(VALU_DEP_1) | instskip(NEXT) | instid1(VALU_DEP_1)
	v_mul_f32_e32 v37, 0x37800000, v15
	v_cndmask_b32_e32 v15, v15, v37, vcc_lo
	v_cmp_class_f32_e64 vcc_lo, v14, 0x260
	s_delay_alu instid0(VALU_DEP_2) | instskip(SKIP_1) | instid1(VALU_DEP_1)
	v_cndmask_b32_e32 v118, v15, v14, vcc_lo
	v_pk_add_f32 v[14:15], v[96:97], v[16:17] neg_lo:[0,1] neg_hi:[0,1]
	v_pk_mul_f32 v[14:15], v[14:15], v[14:15]
	v_sub_f32_e32 v37, v13, v117
	s_delay_alu instid0(VALU_DEP_1) | instskip(NEXT) | instid1(VALU_DEP_1)
	v_fma_f32 v14, v37, v37, v14
	v_add_f32_e32 v14, v14, v15
	s_delay_alu instid0(VALU_DEP_1) | instskip(SKIP_1) | instid1(VALU_DEP_1)
	v_cmp_gt_f32_e32 vcc_lo, 0xf800000, v14
	v_mul_f32_e32 v15, 0x4f800000, v14
	v_cndmask_b32_e32 v14, v14, v15, vcc_lo
	s_delay_alu instid0(VALU_DEP_1) | instskip(SKIP_1) | instid1(TRANS32_DEP_1)
	v_sqrt_f32_e32 v15, v14
	v_nop
	v_add_nc_u32_e32 v37, -1, v15
	s_delay_alu instid0(VALU_DEP_1) | instskip(NEXT) | instid1(VALU_DEP_1)
	v_fma_f32 v52, -v37, v15, v14
	v_cmp_ge_f32_e64 s0, 0, v52
	s_delay_alu instid0(VALU_DEP_1) | instskip(NEXT) | instid1(VALU_DEP_1)
	v_dual_add_nc_u32 v52, 1, v15 :: v_dual_cndmask_b32 v37, v15, v37, s0
	v_fma_f32 v15, -v52, v15, v14
	s_delay_alu instid0(VALU_DEP_1) | instskip(NEXT) | instid1(VALU_DEP_1)
	v_cmp_lt_f32_e64 s0, 0, v15
	v_cndmask_b32_e64 v15, v37, v52, s0
	s_delay_alu instid0(VALU_DEP_1) | instskip(NEXT) | instid1(VALU_DEP_1)
	v_mul_f32_e32 v37, 0x37800000, v15
	v_cndmask_b32_e32 v15, v15, v37, vcc_lo
	v_cmp_class_f32_e64 vcc_lo, v14, 0x260
	s_delay_alu instid0(VALU_DEP_1) | instskip(NEXT) | instid1(VALU_DEP_1)
	v_dual_sub_f32 v37, v24, v117 :: v_dual_cndmask_b32 v119, v15, v14, vcc_lo
	v_pk_add_f32 v[14:15], v[118:119], v[110:111] op_sel_hi:[1,0] neg_lo:[0,1] neg_hi:[0,1]
	v_pk_fma_f32 v[52:53], v[108:109], v[118:119], 1.0 op_sel_hi:[0,1,0] neg_lo:[1,0,0] neg_hi:[1,0,0]
	s_delay_alu instid0(VALU_DEP_2) | instskip(NEXT) | instid1(VALU_DEP_3)
	v_cmp_gt_f32_e32 vcc_lo, 0, v14
	v_cmp_gt_f32_e64 s0, 0, v15
	v_cmp_gt_f32_e64 s1, s34, v14
	;; [unrolled: 1-line block ×3, first 2 shown]
	v_cndmask_b32_e64 v118, 0, 0x42980000, vcc_lo
	s_delay_alu instid0(VALU_DEP_4) | instskip(NEXT) | instid1(VALU_DEP_1)
	v_cndmask_b32_e64 v119, 0, 0x42980000, s0
	v_pk_fma_f32 v[22:23], v[52:53], v[118:119], v[22:23]
	v_pk_fma_f32 v[52:53], s[18:19], v[14:15], 1.0 op_sel_hi:[0,1,0] neg_lo:[1,0,0] neg_hi:[1,0,0]
	v_cndmask_b32_e64 v119, 0, 1.0, s3
	v_cndmask_b32_e64 v118, 0, 1.0, s1
	v_cmp_gt_f32_e64 s1, s31, v15
	v_cmp_gt_f32_e64 s3, s31, v14
	v_cndmask_b32_e64 v53, v53, 1.0, s0
	v_cndmask_b32_e64 v52, v52, 1.0, vcc_lo
	s_and_b32 s1, s30, s1
	s_and_b32 s3, s30, s3
	s_delay_alu instid0(VALU_DEP_1) | instskip(NEXT) | instid1(VALU_DEP_1)
	v_pk_mul_f32 v[52:53], v[118:119], v[52:53]
	v_pk_mul_f32 v[52:53], v[100:101], v[52:53] op_sel_hi:[0,1]
	s_delay_alu instid0(VALU_DEP_1) | instskip(NEXT) | instid1(VALU_DEP_2)
	v_cndmask_b32_e64 v53, v53, -|v53|, s33
	v_cndmask_b32_e64 v52, v52, -|v52|, s33
	s_delay_alu instid0(VALU_DEP_1) | instskip(SKIP_3) | instid1(VALU_DEP_3)
	v_pk_fma_f32 v[22:23], v[52:53], s[12:13], v[22:23] op_sel_hi:[1,0,1]
	v_pk_fma_f32 v[52:53], v[98:99], v[14:15], 1.0 op_sel_hi:[0,1,0] neg_lo:[1,0,0] neg_hi:[1,0,0]
	v_cndmask_b32_e64 v15, 0, 1.0, s1
	v_cndmask_b32_e64 v14, 0, 1.0, s3
	;; [unrolled: 1-line block ×3, first 2 shown]
	s_delay_alu instid0(VALU_DEP_4) | instskip(NEXT) | instid1(VALU_DEP_3)
	v_cndmask_b32_e64 v52, v52, 1.0, vcc_lo
	v_pk_mul_f32 v[14:15], s[16:17], v[14:15] op_sel_hi:[0,1]
	s_delay_alu instid0(VALU_DEP_1) | instskip(SKIP_1) | instid1(VALU_DEP_1)
	v_pk_fma_f32 v[22:23], v[52:53], v[14:15], v[22:23]
	v_pk_add_f32 v[14:15], v[102:103], v[16:17] neg_lo:[0,1] neg_hi:[0,1]
	v_pk_mul_f32 v[14:15], v[14:15], v[14:15]
	s_delay_alu instid0(VALU_DEP_1) | instskip(NEXT) | instid1(VALU_DEP_1)
	v_fma_f32 v14, v37, v37, v14
	v_add_f32_e32 v14, v14, v15
	s_delay_alu instid0(VALU_DEP_1) | instskip(SKIP_1) | instid1(VALU_DEP_1)
	v_cmp_gt_f32_e32 vcc_lo, 0xf800000, v14
	v_mul_f32_e32 v15, 0x4f800000, v14
	v_cndmask_b32_e32 v14, v14, v15, vcc_lo
	s_delay_alu instid0(VALU_DEP_1) | instskip(SKIP_1) | instid1(TRANS32_DEP_1)
	v_sqrt_f32_e32 v15, v14
	v_nop
	v_add_nc_u32_e32 v37, -1, v15
	s_delay_alu instid0(VALU_DEP_1) | instskip(NEXT) | instid1(VALU_DEP_1)
	v_fma_f32 v52, -v37, v15, v14
	v_cmp_ge_f32_e64 s0, 0, v52
	s_delay_alu instid0(VALU_DEP_1) | instskip(NEXT) | instid1(VALU_DEP_1)
	v_dual_add_nc_u32 v52, 1, v15 :: v_dual_cndmask_b32 v37, v15, v37, s0
	v_fma_f32 v15, -v52, v15, v14
	s_delay_alu instid0(VALU_DEP_1) | instskip(NEXT) | instid1(VALU_DEP_1)
	v_cmp_lt_f32_e64 s0, 0, v15
	v_cndmask_b32_e64 v15, v37, v52, s0
	v_pk_add_f32 v[52:53], v[8:9], v[16:17] neg_lo:[0,1] neg_hi:[0,1]
	s_delay_alu instid0(VALU_DEP_2) | instskip(NEXT) | instid1(VALU_DEP_2)
	v_mul_f32_e32 v37, 0x37800000, v15
	v_pk_mul_f32 v[52:53], v[52:53], v[52:53]
	s_delay_alu instid0(VALU_DEP_2) | instskip(SKIP_1) | instid1(VALU_DEP_2)
	v_cndmask_b32_e32 v15, v15, v37, vcc_lo
	v_cmp_class_f32_e64 vcc_lo, v14, 0x260
	v_dual_cndmask_b32 v14, v15, v14 :: v_dual_sub_f32 v15, v25, v117
	s_delay_alu instid0(VALU_DEP_1) | instskip(NEXT) | instid1(VALU_DEP_1)
	v_fma_f32 v15, v15, v15, v52
	v_add_f32_e32 v15, v15, v53
	s_delay_alu instid0(VALU_DEP_1) | instskip(SKIP_1) | instid1(VALU_DEP_1)
	v_cmp_gt_f32_e32 vcc_lo, 0xf800000, v15
	v_mul_f32_e32 v37, 0x4f800000, v15
	v_cndmask_b32_e32 v15, v15, v37, vcc_lo
	s_delay_alu instid0(VALU_DEP_1) | instskip(SKIP_1) | instid1(TRANS32_DEP_1)
	v_sqrt_f32_e32 v37, v15
	v_nop
	v_add_nc_u32_e32 v52, -1, v37
	s_delay_alu instid0(VALU_DEP_1) | instskip(NEXT) | instid1(VALU_DEP_1)
	v_fma_f32 v53, -v52, v37, v15
	v_cmp_ge_f32_e64 s0, 0, v53
	s_delay_alu instid0(VALU_DEP_1) | instskip(NEXT) | instid1(VALU_DEP_1)
	v_dual_add_nc_u32 v53, 1, v37 :: v_dual_cndmask_b32 v52, v37, v52, s0
	v_fma_f32 v37, -v53, v37, v15
	s_delay_alu instid0(VALU_DEP_1) | instskip(NEXT) | instid1(VALU_DEP_1)
	v_cmp_lt_f32_e64 s0, 0, v37
	v_cndmask_b32_e64 v37, v52, v53, s0
	s_delay_alu instid0(VALU_DEP_1) | instskip(NEXT) | instid1(VALU_DEP_1)
	v_mul_f32_e32 v52, 0x37800000, v37
	v_cndmask_b32_e32 v37, v37, v52, vcc_lo
	v_cmp_class_f32_e64 vcc_lo, v15, 0x260
	s_delay_alu instid0(VALU_DEP_1) | instskip(NEXT) | instid1(VALU_DEP_1)
	v_dual_cndmask_b32 v15, v37, v15, vcc_lo :: v_dual_sub_f32 v37, v26, v117
	v_pk_add_f32 v[52:53], v[14:15], v[110:111] op_sel_hi:[1,0] neg_lo:[0,1] neg_hi:[0,1]
	v_pk_fma_f32 v[14:15], v[108:109], v[14:15], 1.0 op_sel_hi:[0,1,0] neg_lo:[1,0,0] neg_hi:[1,0,0]
	s_delay_alu instid0(VALU_DEP_2) | instskip(NEXT) | instid1(VALU_DEP_3)
	v_cmp_gt_f32_e32 vcc_lo, 0, v52
	v_cmp_gt_f32_e64 s0, 0, v53
	v_cmp_gt_f32_e64 s1, s34, v52
	;; [unrolled: 1-line block ×3, first 2 shown]
	v_cndmask_b32_e64 v118, 0, 0x42980000, vcc_lo
	s_delay_alu instid0(VALU_DEP_4) | instskip(NEXT) | instid1(VALU_DEP_1)
	v_cndmask_b32_e64 v119, 0, 0x42980000, s0
	v_pk_fma_f32 v[14:15], v[14:15], v[118:119], v[76:77]
	v_pk_fma_f32 v[76:77], s[18:19], v[52:53], 1.0 op_sel_hi:[0,1,0] neg_lo:[1,0,0] neg_hi:[1,0,0]
	v_cndmask_b32_e64 v119, 0, 1.0, s3
	v_cndmask_b32_e64 v118, 0, 1.0, s1
	v_cmp_gt_f32_e64 s1, s31, v53
	v_cmp_gt_f32_e64 s3, s31, v52
	v_cndmask_b32_e64 v77, v77, 1.0, s0
	v_cndmask_b32_e64 v76, v76, 1.0, vcc_lo
	s_and_b32 s1, s30, s1
	s_and_b32 s3, s30, s3
	s_delay_alu instid0(VALU_DEP_1) | instskip(NEXT) | instid1(VALU_DEP_1)
	v_pk_mul_f32 v[76:77], v[118:119], v[76:77]
	v_pk_mul_f32 v[76:77], v[100:101], v[76:77] op_sel_hi:[0,1]
	s_delay_alu instid0(VALU_DEP_1) | instskip(NEXT) | instid1(VALU_DEP_2)
	v_cndmask_b32_e64 v77, v77, -|v77|, s33
	v_cndmask_b32_e64 v76, v76, -|v76|, s33
	s_delay_alu instid0(VALU_DEP_1) | instskip(SKIP_3) | instid1(VALU_DEP_3)
	v_pk_fma_f32 v[14:15], v[76:77], s[12:13], v[14:15] op_sel_hi:[1,0,1]
	v_pk_fma_f32 v[76:77], v[98:99], v[52:53], 1.0 op_sel_hi:[0,1,0] neg_lo:[1,0,0] neg_hi:[1,0,0]
	v_cndmask_b32_e64 v53, 0, 1.0, s1
	v_cndmask_b32_e64 v52, 0, 1.0, s3
	;; [unrolled: 1-line block ×3, first 2 shown]
	s_delay_alu instid0(VALU_DEP_4) | instskip(NEXT) | instid1(VALU_DEP_3)
	v_cndmask_b32_e64 v76, v76, 1.0, vcc_lo
	v_pk_mul_f32 v[52:53], s[16:17], v[52:53] op_sel_hi:[0,1]
	s_delay_alu instid0(VALU_DEP_1) | instskip(SKIP_1) | instid1(VALU_DEP_1)
	v_pk_fma_f32 v[76:77], v[76:77], v[52:53], v[14:15]
	v_pk_add_f32 v[14:15], v[38:39], v[16:17] neg_lo:[0,1] neg_hi:[0,1]
	v_pk_mul_f32 v[14:15], v[14:15], v[14:15]
	s_delay_alu instid0(VALU_DEP_1) | instskip(NEXT) | instid1(VALU_DEP_1)
	v_fma_f32 v14, v37, v37, v14
	v_add_f32_e32 v14, v14, v15
	s_delay_alu instid0(VALU_DEP_1) | instskip(SKIP_1) | instid1(VALU_DEP_1)
	v_cmp_gt_f32_e32 vcc_lo, 0xf800000, v14
	v_mul_f32_e32 v15, 0x4f800000, v14
	v_cndmask_b32_e32 v14, v14, v15, vcc_lo
	s_delay_alu instid0(VALU_DEP_1) | instskip(SKIP_1) | instid1(TRANS32_DEP_1)
	v_sqrt_f32_e32 v15, v14
	v_nop
	v_add_nc_u32_e32 v37, -1, v15
	s_delay_alu instid0(VALU_DEP_1) | instskip(NEXT) | instid1(VALU_DEP_1)
	v_fma_f32 v52, -v37, v15, v14
	v_cmp_ge_f32_e64 s0, 0, v52
	s_delay_alu instid0(VALU_DEP_1) | instskip(NEXT) | instid1(VALU_DEP_1)
	v_dual_add_nc_u32 v52, 1, v15 :: v_dual_cndmask_b32 v37, v15, v37, s0
	v_fma_f32 v15, -v52, v15, v14
	s_delay_alu instid0(VALU_DEP_1) | instskip(NEXT) | instid1(VALU_DEP_1)
	v_cmp_lt_f32_e64 s0, 0, v15
	v_cndmask_b32_e64 v15, v37, v52, s0
	s_delay_alu instid0(VALU_DEP_1) | instskip(NEXT) | instid1(VALU_DEP_1)
	v_mul_f32_e32 v37, 0x37800000, v15
	v_cndmask_b32_e32 v15, v15, v37, vcc_lo
	v_cmp_class_f32_e64 vcc_lo, v14, 0x260
	v_sub_f32_e32 v37, v27, v117
	s_delay_alu instid0(VALU_DEP_3) | instskip(SKIP_1) | instid1(VALU_DEP_1)
	v_cndmask_b32_e32 v118, v15, v14, vcc_lo
	v_pk_add_f32 v[14:15], v[56:57], v[16:17] neg_lo:[0,1] neg_hi:[0,1]
	v_pk_mul_f32 v[14:15], v[14:15], v[14:15]
	s_delay_alu instid0(VALU_DEP_1) | instskip(NEXT) | instid1(VALU_DEP_1)
	v_fma_f32 v14, v37, v37, v14
	v_add_f32_e32 v14, v14, v15
	s_delay_alu instid0(VALU_DEP_1) | instskip(SKIP_1) | instid1(VALU_DEP_1)
	v_cmp_gt_f32_e32 vcc_lo, 0xf800000, v14
	v_mul_f32_e32 v15, 0x4f800000, v14
	v_cndmask_b32_e32 v14, v14, v15, vcc_lo
	s_delay_alu instid0(VALU_DEP_1) | instskip(SKIP_1) | instid1(TRANS32_DEP_1)
	v_sqrt_f32_e32 v15, v14
	v_nop
	v_add_nc_u32_e32 v37, -1, v15
	s_delay_alu instid0(VALU_DEP_1) | instskip(NEXT) | instid1(VALU_DEP_1)
	v_fma_f32 v52, -v37, v15, v14
	v_cmp_ge_f32_e64 s0, 0, v52
	s_delay_alu instid0(VALU_DEP_1) | instskip(NEXT) | instid1(VALU_DEP_1)
	v_dual_add_nc_u32 v52, 1, v15 :: v_dual_cndmask_b32 v37, v15, v37, s0
	v_fma_f32 v15, -v52, v15, v14
	s_delay_alu instid0(VALU_DEP_1) | instskip(NEXT) | instid1(VALU_DEP_1)
	v_cmp_lt_f32_e64 s0, 0, v15
	v_cndmask_b32_e64 v15, v37, v52, s0
	s_delay_alu instid0(VALU_DEP_1) | instskip(NEXT) | instid1(VALU_DEP_1)
	v_mul_f32_e32 v37, 0x37800000, v15
	v_cndmask_b32_e32 v15, v15, v37, vcc_lo
	v_cmp_class_f32_e64 vcc_lo, v14, 0x260
	s_delay_alu instid0(VALU_DEP_1) | instskip(NEXT) | instid1(VALU_DEP_1)
	v_dual_sub_f32 v37, v36, v117 :: v_dual_cndmask_b32 v119, v15, v14, vcc_lo
	v_pk_add_f32 v[14:15], v[118:119], v[110:111] op_sel_hi:[1,0] neg_lo:[0,1] neg_hi:[0,1]
	v_pk_fma_f32 v[52:53], v[108:109], v[118:119], 1.0 op_sel_hi:[0,1,0] neg_lo:[1,0,0] neg_hi:[1,0,0]
	s_delay_alu instid0(VALU_DEP_2) | instskip(NEXT) | instid1(VALU_DEP_3)
	v_cmp_gt_f32_e32 vcc_lo, 0, v14
	v_cmp_gt_f32_e64 s0, 0, v15
	v_cmp_gt_f32_e64 s1, s34, v14
	;; [unrolled: 1-line block ×3, first 2 shown]
	v_cndmask_b32_e64 v118, 0, 0x42980000, vcc_lo
	s_delay_alu instid0(VALU_DEP_4) | instskip(NEXT) | instid1(VALU_DEP_1)
	v_cndmask_b32_e64 v119, 0, 0x42980000, s0
	v_pk_fma_f32 v[52:53], v[52:53], v[118:119], v[78:79]
	v_pk_fma_f32 v[78:79], s[18:19], v[14:15], 1.0 op_sel_hi:[0,1,0] neg_lo:[1,0,0] neg_hi:[1,0,0]
	v_cndmask_b32_e64 v119, 0, 1.0, s3
	v_cndmask_b32_e64 v118, 0, 1.0, s1
	v_cmp_gt_f32_e64 s1, s31, v15
	v_cmp_gt_f32_e64 s3, s31, v14
	v_cndmask_b32_e64 v79, v79, 1.0, s0
	v_cndmask_b32_e64 v78, v78, 1.0, vcc_lo
	s_and_b32 s1, s30, s1
	s_and_b32 s3, s30, s3
	s_delay_alu instid0(VALU_DEP_1) | instskip(NEXT) | instid1(VALU_DEP_1)
	v_pk_mul_f32 v[78:79], v[118:119], v[78:79]
	v_pk_mul_f32 v[78:79], v[100:101], v[78:79] op_sel_hi:[0,1]
	s_delay_alu instid0(VALU_DEP_1) | instskip(NEXT) | instid1(VALU_DEP_2)
	v_cndmask_b32_e64 v79, v79, -|v79|, s33
	v_cndmask_b32_e64 v78, v78, -|v78|, s33
	s_delay_alu instid0(VALU_DEP_1) | instskip(SKIP_3) | instid1(VALU_DEP_3)
	v_pk_fma_f32 v[52:53], v[78:79], s[12:13], v[52:53] op_sel_hi:[1,0,1]
	v_pk_fma_f32 v[78:79], v[98:99], v[14:15], 1.0 op_sel_hi:[0,1,0] neg_lo:[1,0,0] neg_hi:[1,0,0]
	v_cndmask_b32_e64 v15, 0, 1.0, s1
	v_cndmask_b32_e64 v14, 0, 1.0, s3
	;; [unrolled: 1-line block ×3, first 2 shown]
	s_delay_alu instid0(VALU_DEP_4) | instskip(NEXT) | instid1(VALU_DEP_3)
	v_cndmask_b32_e64 v78, v78, 1.0, vcc_lo
	v_pk_mul_f32 v[14:15], s[16:17], v[14:15] op_sel_hi:[0,1]
	s_delay_alu instid0(VALU_DEP_1) | instskip(SKIP_1) | instid1(VALU_DEP_1)
	v_pk_fma_f32 v[78:79], v[78:79], v[14:15], v[52:53]
	v_pk_add_f32 v[14:15], v[58:59], v[16:17] neg_lo:[0,1] neg_hi:[0,1]
	v_pk_mul_f32 v[14:15], v[14:15], v[14:15]
	s_delay_alu instid0(VALU_DEP_1) | instskip(NEXT) | instid1(VALU_DEP_1)
	v_fma_f32 v14, v37, v37, v14
	v_add_f32_e32 v14, v14, v15
	s_delay_alu instid0(VALU_DEP_1) | instskip(SKIP_1) | instid1(VALU_DEP_1)
	v_cmp_gt_f32_e32 vcc_lo, 0xf800000, v14
	v_mul_f32_e32 v15, 0x4f800000, v14
	v_cndmask_b32_e32 v14, v14, v15, vcc_lo
	s_delay_alu instid0(VALU_DEP_1) | instskip(SKIP_1) | instid1(TRANS32_DEP_1)
	v_sqrt_f32_e32 v15, v14
	v_nop
	v_add_nc_u32_e32 v37, -1, v15
	s_delay_alu instid0(VALU_DEP_1) | instskip(NEXT) | instid1(VALU_DEP_1)
	v_fma_f32 v52, -v37, v15, v14
	v_cmp_ge_f32_e64 s0, 0, v52
	s_delay_alu instid0(VALU_DEP_1) | instskip(NEXT) | instid1(VALU_DEP_1)
	v_dual_add_nc_u32 v52, 1, v15 :: v_dual_cndmask_b32 v37, v15, v37, s0
	v_fma_f32 v15, -v52, v15, v14
	s_delay_alu instid0(VALU_DEP_1) | instskip(NEXT) | instid1(VALU_DEP_1)
	v_cmp_lt_f32_e64 s0, 0, v15
	v_cndmask_b32_e64 v15, v37, v52, s0
	scratch_load_b64 v[52:53], off, off offset:3328 ; 8-byte Folded Reload
	v_mul_f32_e32 v37, 0x37800000, v15
	s_delay_alu instid0(VALU_DEP_1) | instskip(SKIP_1) | instid1(VALU_DEP_2)
	v_cndmask_b32_e32 v15, v15, v37, vcc_lo
	v_cmp_class_f32_e64 vcc_lo, v14, 0x260
	v_dual_cndmask_b32 v14, v15, v14 :: v_dual_sub_f32 v15, v80, v117
	s_wait_loadcnt 0x0
	v_pk_add_f32 v[52:53], v[52:53], v[16:17] neg_lo:[0,1] neg_hi:[0,1]
	s_delay_alu instid0(VALU_DEP_1) | instskip(NEXT) | instid1(VALU_DEP_1)
	v_pk_mul_f32 v[52:53], v[52:53], v[52:53]
	v_fma_f32 v15, v15, v15, v52
	s_delay_alu instid0(VALU_DEP_1) | instskip(NEXT) | instid1(VALU_DEP_1)
	v_add_f32_e32 v15, v15, v53
	v_cmp_gt_f32_e32 vcc_lo, 0xf800000, v15
	v_mul_f32_e32 v37, 0x4f800000, v15
	s_delay_alu instid0(VALU_DEP_1) | instskip(NEXT) | instid1(VALU_DEP_1)
	v_cndmask_b32_e32 v15, v15, v37, vcc_lo
	v_sqrt_f32_e32 v37, v15
	v_nop
	s_delay_alu instid0(TRANS32_DEP_1) | instskip(NEXT) | instid1(VALU_DEP_1)
	v_add_nc_u32_e32 v52, -1, v37
	v_fma_f32 v53, -v52, v37, v15
	s_delay_alu instid0(VALU_DEP_1) | instskip(NEXT) | instid1(VALU_DEP_1)
	v_cmp_ge_f32_e64 s0, 0, v53
	v_dual_add_nc_u32 v53, 1, v37 :: v_dual_cndmask_b32 v52, v37, v52, s0
	s_delay_alu instid0(VALU_DEP_1) | instskip(NEXT) | instid1(VALU_DEP_1)
	v_fma_f32 v37, -v53, v37, v15
	v_cmp_lt_f32_e64 s0, 0, v37
	s_delay_alu instid0(VALU_DEP_1) | instskip(NEXT) | instid1(VALU_DEP_1)
	v_cndmask_b32_e64 v37, v52, v53, s0
	v_mul_f32_e32 v52, 0x37800000, v37
	s_delay_alu instid0(VALU_DEP_1) | instskip(SKIP_1) | instid1(VALU_DEP_2)
	v_cndmask_b32_e32 v37, v37, v52, vcc_lo
	v_cmp_class_f32_e64 vcc_lo, v15, 0x260
	v_cndmask_b32_e32 v15, v37, v15, vcc_lo
	s_delay_alu instid0(VALU_DEP_1) | instskip(SKIP_1) | instid1(VALU_DEP_2)
	v_pk_add_f32 v[52:53], v[14:15], v[110:111] op_sel_hi:[1,0] neg_lo:[0,1] neg_hi:[0,1]
	v_pk_fma_f32 v[14:15], v[108:109], v[14:15], 1.0 op_sel_hi:[0,1,0] neg_lo:[1,0,0] neg_hi:[1,0,0]
	v_cmp_gt_f32_e32 vcc_lo, 0, v52
	s_delay_alu instid0(VALU_DEP_3) | instskip(SKIP_3) | instid1(VALU_DEP_4)
	v_cmp_gt_f32_e64 s0, 0, v53
	v_cmp_gt_f32_e64 s1, s34, v52
	;; [unrolled: 1-line block ×3, first 2 shown]
	v_cndmask_b32_e64 v118, 0, 0x42980000, vcc_lo
	v_cndmask_b32_e64 v119, 0, 0x42980000, s0
	s_delay_alu instid0(VALU_DEP_1)
	v_pk_fma_f32 v[14:15], v[14:15], v[118:119], v[40:41]
	v_pk_fma_f32 v[40:41], s[18:19], v[52:53], 1.0 op_sel_hi:[0,1,0] neg_lo:[1,0,0] neg_hi:[1,0,0]
	v_cndmask_b32_e64 v119, 0, 1.0, s3
	v_cndmask_b32_e64 v118, 0, 1.0, s1
	v_cmp_gt_f32_e64 s1, s31, v53
	v_cmp_gt_f32_e64 s3, s31, v52
	v_cndmask_b32_e64 v41, v41, 1.0, s0
	v_cndmask_b32_e64 v40, v40, 1.0, vcc_lo
	s_and_b32 s1, s30, s1
	s_and_b32 s3, s30, s3
	s_delay_alu instid0(VALU_DEP_1) | instskip(NEXT) | instid1(VALU_DEP_1)
	v_pk_mul_f32 v[40:41], v[118:119], v[40:41]
	v_pk_mul_f32 v[40:41], v[100:101], v[40:41] op_sel_hi:[0,1]
	s_delay_alu instid0(VALU_DEP_1) | instskip(NEXT) | instid1(VALU_DEP_2)
	v_cndmask_b32_e64 v41, v41, -|v41|, s33
	v_cndmask_b32_e64 v40, v40, -|v40|, s33
	s_delay_alu instid0(VALU_DEP_1) | instskip(SKIP_3) | instid1(VALU_DEP_3)
	v_pk_fma_f32 v[14:15], v[40:41], s[12:13], v[14:15] op_sel_hi:[1,0,1]
	v_pk_fma_f32 v[40:41], v[98:99], v[52:53], 1.0 op_sel_hi:[0,1,0] neg_lo:[1,0,0] neg_hi:[1,0,0]
	v_cndmask_b32_e64 v53, 0, 1.0, s1
	v_cndmask_b32_e64 v52, 0, 1.0, s3
	;; [unrolled: 1-line block ×3, first 2 shown]
	s_delay_alu instid0(VALU_DEP_4) | instskip(NEXT) | instid1(VALU_DEP_3)
	v_cndmask_b32_e64 v40, v40, 1.0, vcc_lo
	v_pk_mul_f32 v[52:53], s[16:17], v[52:53] op_sel_hi:[0,1]
	s_delay_alu instid0(VALU_DEP_1)
	v_pk_fma_f32 v[40:41], v[40:41], v[52:53], v[14:15]
	scratch_load_b32 v14, off, off offset:3336 ; 4-byte Folded Reload
	s_wait_loadcnt 0x0
	v_sub_f32_e32 v37, v14, v117
	scratch_load_b64 v[14:15], off, off offset:3340 ; 8-byte Folded Reload
	s_wait_loadcnt 0x0
	v_pk_add_f32 v[14:15], v[14:15], v[16:17] neg_lo:[0,1] neg_hi:[0,1]
	s_delay_alu instid0(VALU_DEP_1) | instskip(NEXT) | instid1(VALU_DEP_1)
	v_pk_mul_f32 v[14:15], v[14:15], v[14:15]
	v_fma_f32 v14, v37, v37, v14
	s_delay_alu instid0(VALU_DEP_1) | instskip(NEXT) | instid1(VALU_DEP_1)
	v_add_f32_e32 v14, v14, v15
	v_cmp_gt_f32_e32 vcc_lo, 0xf800000, v14
	v_mul_f32_e32 v15, 0x4f800000, v14
	s_delay_alu instid0(VALU_DEP_1) | instskip(NEXT) | instid1(VALU_DEP_1)
	v_cndmask_b32_e32 v14, v14, v15, vcc_lo
	v_sqrt_f32_e32 v15, v14
	v_nop
	s_delay_alu instid0(TRANS32_DEP_1) | instskip(NEXT) | instid1(VALU_DEP_1)
	v_add_nc_u32_e32 v37, -1, v15
	v_fma_f32 v52, -v37, v15, v14
	s_delay_alu instid0(VALU_DEP_1) | instskip(NEXT) | instid1(VALU_DEP_1)
	v_cmp_ge_f32_e64 s0, 0, v52
	v_dual_add_nc_u32 v52, 1, v15 :: v_dual_cndmask_b32 v37, v15, v37, s0
	s_delay_alu instid0(VALU_DEP_1) | instskip(NEXT) | instid1(VALU_DEP_1)
	v_fma_f32 v15, -v52, v15, v14
	v_cmp_lt_f32_e64 s0, 0, v15
	s_delay_alu instid0(VALU_DEP_1) | instskip(NEXT) | instid1(VALU_DEP_1)
	v_cndmask_b32_e64 v15, v37, v52, s0
	v_mul_f32_e32 v37, 0x37800000, v15
	s_delay_alu instid0(VALU_DEP_1) | instskip(SKIP_1) | instid1(VALU_DEP_2)
	v_cndmask_b32_e32 v15, v15, v37, vcc_lo
	v_cmp_class_f32_e64 vcc_lo, v14, 0x260
	v_cndmask_b32_e32 v118, v15, v14, vcc_lo
	scratch_load_b32 v14, off, off offset:3348 ; 4-byte Folded Reload
	s_wait_loadcnt 0x0
	v_sub_f32_e32 v37, v14, v117
	scratch_load_b64 v[14:15], off, off offset:3352 ; 8-byte Folded Reload
	s_wait_loadcnt 0x0
	v_pk_add_f32 v[14:15], v[14:15], v[16:17] neg_lo:[0,1] neg_hi:[0,1]
	s_delay_alu instid0(VALU_DEP_1) | instskip(NEXT) | instid1(VALU_DEP_1)
	v_pk_mul_f32 v[14:15], v[14:15], v[14:15]
	v_fma_f32 v14, v37, v37, v14
	s_delay_alu instid0(VALU_DEP_1) | instskip(NEXT) | instid1(VALU_DEP_1)
	v_add_f32_e32 v14, v14, v15
	v_cmp_gt_f32_e32 vcc_lo, 0xf800000, v14
	v_mul_f32_e32 v15, 0x4f800000, v14
	s_delay_alu instid0(VALU_DEP_1) | instskip(NEXT) | instid1(VALU_DEP_1)
	v_cndmask_b32_e32 v14, v14, v15, vcc_lo
	v_sqrt_f32_e32 v15, v14
	v_nop
	s_delay_alu instid0(TRANS32_DEP_1) | instskip(NEXT) | instid1(VALU_DEP_1)
	v_add_nc_u32_e32 v37, -1, v15
	v_fma_f32 v52, -v37, v15, v14
	s_delay_alu instid0(VALU_DEP_1) | instskip(NEXT) | instid1(VALU_DEP_1)
	v_cmp_ge_f32_e64 s0, 0, v52
	v_dual_add_nc_u32 v52, 1, v15 :: v_dual_cndmask_b32 v37, v15, v37, s0
	s_delay_alu instid0(VALU_DEP_1) | instskip(NEXT) | instid1(VALU_DEP_1)
	v_fma_f32 v15, -v52, v15, v14
	v_cmp_lt_f32_e64 s0, 0, v15
	s_delay_alu instid0(VALU_DEP_1) | instskip(NEXT) | instid1(VALU_DEP_1)
	v_cndmask_b32_e64 v15, v37, v52, s0
	v_mul_f32_e32 v37, 0x37800000, v15
	s_delay_alu instid0(VALU_DEP_1) | instskip(SKIP_1) | instid1(VALU_DEP_2)
	v_cndmask_b32_e32 v15, v15, v37, vcc_lo
	v_cmp_class_f32_e64 vcc_lo, v14, 0x260
	v_cndmask_b32_e32 v119, v15, v14, vcc_lo
	s_delay_alu instid0(VALU_DEP_1) | instskip(SKIP_1) | instid1(VALU_DEP_2)
	v_pk_add_f32 v[14:15], v[118:119], v[110:111] op_sel_hi:[1,0] neg_lo:[0,1] neg_hi:[0,1]
	v_pk_fma_f32 v[52:53], v[108:109], v[118:119], 1.0 op_sel_hi:[0,1,0] neg_lo:[1,0,0] neg_hi:[1,0,0]
	v_cmp_gt_f32_e32 vcc_lo, 0, v14
	s_delay_alu instid0(VALU_DEP_3) | instskip(SKIP_3) | instid1(VALU_DEP_4)
	v_cmp_gt_f32_e64 s0, 0, v15
	v_cmp_gt_f32_e64 s1, s34, v14
	;; [unrolled: 1-line block ×3, first 2 shown]
	v_cndmask_b32_e64 v118, 0, 0x42980000, vcc_lo
	v_cndmask_b32_e64 v119, 0, 0x42980000, s0
	s_delay_alu instid0(VALU_DEP_1)
	v_pk_fma_f32 v[42:43], v[52:53], v[118:119], v[42:43]
	v_pk_fma_f32 v[52:53], s[18:19], v[14:15], 1.0 op_sel_hi:[0,1,0] neg_lo:[1,0,0] neg_hi:[1,0,0]
	v_cndmask_b32_e64 v119, 0, 1.0, s3
	v_cndmask_b32_e64 v118, 0, 1.0, s1
	v_cmp_gt_f32_e64 s1, s31, v15
	v_cmp_gt_f32_e64 s3, s31, v14
	v_cndmask_b32_e64 v53, v53, 1.0, s0
	v_cndmask_b32_e64 v52, v52, 1.0, vcc_lo
	s_and_b32 s1, s30, s1
	s_and_b32 s3, s30, s3
	s_delay_alu instid0(VALU_DEP_1) | instskip(NEXT) | instid1(VALU_DEP_1)
	v_pk_mul_f32 v[52:53], v[118:119], v[52:53]
	v_pk_mul_f32 v[52:53], v[100:101], v[52:53] op_sel_hi:[0,1]
	s_delay_alu instid0(VALU_DEP_1) | instskip(NEXT) | instid1(VALU_DEP_2)
	v_cndmask_b32_e64 v53, v53, -|v53|, s33
	v_cndmask_b32_e64 v52, v52, -|v52|, s33
	s_delay_alu instid0(VALU_DEP_1) | instskip(SKIP_3) | instid1(VALU_DEP_3)
	v_pk_fma_f32 v[42:43], v[52:53], s[12:13], v[42:43] op_sel_hi:[1,0,1]
	v_pk_fma_f32 v[52:53], v[98:99], v[14:15], 1.0 op_sel_hi:[0,1,0] neg_lo:[1,0,0] neg_hi:[1,0,0]
	v_cndmask_b32_e64 v15, 0, 1.0, s1
	v_cndmask_b32_e64 v14, 0, 1.0, s3
	;; [unrolled: 1-line block ×3, first 2 shown]
	s_delay_alu instid0(VALU_DEP_4) | instskip(NEXT) | instid1(VALU_DEP_3)
	v_cndmask_b32_e64 v52, v52, 1.0, vcc_lo
	v_pk_mul_f32 v[14:15], s[16:17], v[14:15] op_sel_hi:[0,1]
	s_delay_alu instid0(VALU_DEP_1)
	v_pk_fma_f32 v[42:43], v[52:53], v[14:15], v[42:43]
	scratch_load_b32 v14, off, off offset:3360 ; 4-byte Folded Reload
	s_wait_loadcnt 0x0
	v_sub_f32_e32 v37, v14, v117
	scratch_load_b64 v[14:15], off, off offset:3364 ; 8-byte Folded Reload
	s_wait_loadcnt 0x0
	v_pk_add_f32 v[14:15], v[14:15], v[16:17] neg_lo:[0,1] neg_hi:[0,1]
	s_delay_alu instid0(VALU_DEP_1) | instskip(NEXT) | instid1(VALU_DEP_1)
	v_pk_mul_f32 v[14:15], v[14:15], v[14:15]
	v_fma_f32 v14, v37, v37, v14
	s_delay_alu instid0(VALU_DEP_1) | instskip(NEXT) | instid1(VALU_DEP_1)
	v_add_f32_e32 v14, v14, v15
	v_cmp_gt_f32_e32 vcc_lo, 0xf800000, v14
	v_mul_f32_e32 v15, 0x4f800000, v14
	s_delay_alu instid0(VALU_DEP_1) | instskip(NEXT) | instid1(VALU_DEP_1)
	v_cndmask_b32_e32 v14, v14, v15, vcc_lo
	v_sqrt_f32_e32 v15, v14
	v_nop
	s_delay_alu instid0(TRANS32_DEP_1) | instskip(NEXT) | instid1(VALU_DEP_1)
	v_add_nc_u32_e32 v37, -1, v15
	v_fma_f32 v52, -v37, v15, v14
	s_delay_alu instid0(VALU_DEP_1) | instskip(NEXT) | instid1(VALU_DEP_1)
	v_cmp_ge_f32_e64 s0, 0, v52
	v_dual_add_nc_u32 v52, 1, v15 :: v_dual_cndmask_b32 v37, v15, v37, s0
	s_delay_alu instid0(VALU_DEP_1) | instskip(NEXT) | instid1(VALU_DEP_1)
	v_fma_f32 v15, -v52, v15, v14
	v_cmp_lt_f32_e64 s0, 0, v15
	s_delay_alu instid0(VALU_DEP_1) | instskip(SKIP_2) | instid1(VALU_DEP_1)
	v_cndmask_b32_e64 v15, v37, v52, s0
	scratch_load_b64 v[52:53], off, off offset:3376 ; 8-byte Folded Reload
	v_mul_f32_e32 v37, 0x37800000, v15
	v_cndmask_b32_e32 v15, v15, v37, vcc_lo
	v_cmp_class_f32_e64 vcc_lo, v14, 0x260
	s_delay_alu instid0(VALU_DEP_2) | instskip(SKIP_3) | instid1(VALU_DEP_1)
	v_cndmask_b32_e32 v14, v15, v14, vcc_lo
	scratch_load_b32 v15, off, off offset:3372 ; 4-byte Folded Reload
	s_wait_loadcnt 0x1
	v_pk_add_f32 v[52:53], v[52:53], v[16:17] neg_lo:[0,1] neg_hi:[0,1]
	v_pk_mul_f32 v[52:53], v[52:53], v[52:53]
	s_wait_loadcnt 0x0
	v_sub_f32_e32 v15, v15, v117
	s_delay_alu instid0(VALU_DEP_1) | instskip(NEXT) | instid1(VALU_DEP_1)
	v_fma_f32 v15, v15, v15, v52
	v_add_f32_e32 v15, v15, v53
	s_delay_alu instid0(VALU_DEP_1) | instskip(SKIP_1) | instid1(VALU_DEP_1)
	v_cmp_gt_f32_e32 vcc_lo, 0xf800000, v15
	v_mul_f32_e32 v37, 0x4f800000, v15
	v_cndmask_b32_e32 v15, v15, v37, vcc_lo
	s_delay_alu instid0(VALU_DEP_1) | instskip(SKIP_1) | instid1(TRANS32_DEP_1)
	v_sqrt_f32_e32 v37, v15
	v_nop
	v_add_nc_u32_e32 v52, -1, v37
	s_delay_alu instid0(VALU_DEP_1) | instskip(NEXT) | instid1(VALU_DEP_1)
	v_fma_f32 v53, -v52, v37, v15
	v_cmp_ge_f32_e64 s0, 0, v53
	s_delay_alu instid0(VALU_DEP_1) | instskip(NEXT) | instid1(VALU_DEP_1)
	v_dual_add_nc_u32 v53, 1, v37 :: v_dual_cndmask_b32 v52, v37, v52, s0
	v_fma_f32 v37, -v53, v37, v15
	s_delay_alu instid0(VALU_DEP_1) | instskip(NEXT) | instid1(VALU_DEP_1)
	v_cmp_lt_f32_e64 s0, 0, v37
	v_cndmask_b32_e64 v37, v52, v53, s0
	s_delay_alu instid0(VALU_DEP_1) | instskip(NEXT) | instid1(VALU_DEP_1)
	v_mul_f32_e32 v52, 0x37800000, v37
	v_cndmask_b32_e32 v37, v37, v52, vcc_lo
	v_cmp_class_f32_e64 vcc_lo, v15, 0x260
	s_delay_alu instid0(VALU_DEP_2) | instskip(NEXT) | instid1(VALU_DEP_1)
	v_cndmask_b32_e32 v15, v37, v15, vcc_lo
	v_pk_add_f32 v[52:53], v[14:15], v[110:111] op_sel_hi:[1,0] neg_lo:[0,1] neg_hi:[0,1]
	v_pk_fma_f32 v[14:15], v[108:109], v[14:15], 1.0 op_sel_hi:[0,1,0] neg_lo:[1,0,0] neg_hi:[1,0,0]
	s_delay_alu instid0(VALU_DEP_2) | instskip(NEXT) | instid1(VALU_DEP_3)
	v_cmp_gt_f32_e32 vcc_lo, 0, v52
	v_cmp_gt_f32_e64 s0, 0, v53
	v_cmp_gt_f32_e64 s1, s34, v52
	;; [unrolled: 1-line block ×3, first 2 shown]
	v_cndmask_b32_e64 v118, 0, 0x42980000, vcc_lo
	s_delay_alu instid0(VALU_DEP_4) | instskip(NEXT) | instid1(VALU_DEP_1)
	v_cndmask_b32_e64 v119, 0, 0x42980000, s0
	v_pk_fma_f32 v[4:5], v[14:15], v[118:119], v[4:5]
	v_pk_fma_f32 v[14:15], s[18:19], v[52:53], 1.0 op_sel_hi:[0,1,0] neg_lo:[1,0,0] neg_hi:[1,0,0]
	v_cndmask_b32_e64 v119, 0, 1.0, s3
	v_cndmask_b32_e64 v118, 0, 1.0, s1
	v_cmp_gt_f32_e64 s1, s31, v53
	v_cmp_gt_f32_e64 s3, s31, v52
	v_cndmask_b32_e64 v15, v15, 1.0, s0
	v_cndmask_b32_e64 v14, v14, 1.0, vcc_lo
	s_and_b32 s1, s30, s1
	s_and_b32 s3, s30, s3
	s_delay_alu instid0(VALU_DEP_1) | instskip(NEXT) | instid1(VALU_DEP_1)
	v_pk_mul_f32 v[14:15], v[118:119], v[14:15]
	v_pk_mul_f32 v[14:15], v[100:101], v[14:15] op_sel_hi:[0,1]
	s_delay_alu instid0(VALU_DEP_1) | instskip(NEXT) | instid1(VALU_DEP_2)
	v_cndmask_b32_e64 v15, v15, -|v15|, s33
	v_cndmask_b32_e64 v14, v14, -|v14|, s33
	s_delay_alu instid0(VALU_DEP_1) | instskip(SKIP_3) | instid1(VALU_DEP_3)
	v_pk_fma_f32 v[4:5], v[14:15], s[12:13], v[4:5] op_sel_hi:[1,0,1]
	v_pk_fma_f32 v[14:15], v[98:99], v[52:53], 1.0 op_sel_hi:[0,1,0] neg_lo:[1,0,0] neg_hi:[1,0,0]
	v_cndmask_b32_e64 v53, 0, 1.0, s1
	v_cndmask_b32_e64 v52, 0, 1.0, s3
	;; [unrolled: 1-line block ×3, first 2 shown]
	s_delay_alu instid0(VALU_DEP_4) | instskip(NEXT) | instid1(VALU_DEP_3)
	v_cndmask_b32_e64 v14, v14, 1.0, vcc_lo
	v_pk_mul_f32 v[52:53], s[16:17], v[52:53] op_sel_hi:[0,1]
	s_delay_alu instid0(VALU_DEP_1)
	v_pk_fma_f32 v[4:5], v[14:15], v[52:53], v[4:5]
	scratch_load_b32 v14, off, off offset:3384 ; 4-byte Folded Reload
	s_wait_loadcnt 0x0
	v_sub_f32_e32 v37, v14, v117
	scratch_load_b64 v[14:15], off, off offset:3388 ; 8-byte Folded Reload
	s_wait_loadcnt 0x0
	v_pk_add_f32 v[14:15], v[14:15], v[16:17] neg_lo:[0,1] neg_hi:[0,1]
	s_delay_alu instid0(VALU_DEP_1) | instskip(NEXT) | instid1(VALU_DEP_1)
	v_pk_mul_f32 v[14:15], v[14:15], v[14:15]
	v_fma_f32 v14, v37, v37, v14
	s_delay_alu instid0(VALU_DEP_1) | instskip(NEXT) | instid1(VALU_DEP_1)
	v_add_f32_e32 v14, v14, v15
	v_cmp_gt_f32_e32 vcc_lo, 0xf800000, v14
	v_mul_f32_e32 v15, 0x4f800000, v14
	s_delay_alu instid0(VALU_DEP_1) | instskip(NEXT) | instid1(VALU_DEP_1)
	v_cndmask_b32_e32 v14, v14, v15, vcc_lo
	v_sqrt_f32_e32 v15, v14
	v_nop
	s_delay_alu instid0(TRANS32_DEP_1) | instskip(NEXT) | instid1(VALU_DEP_1)
	v_add_nc_u32_e32 v37, -1, v15
	v_fma_f32 v52, -v37, v15, v14
	s_delay_alu instid0(VALU_DEP_1) | instskip(NEXT) | instid1(VALU_DEP_1)
	v_cmp_ge_f32_e64 s0, 0, v52
	v_dual_add_nc_u32 v52, 1, v15 :: v_dual_cndmask_b32 v37, v15, v37, s0
	s_delay_alu instid0(VALU_DEP_1) | instskip(NEXT) | instid1(VALU_DEP_1)
	v_fma_f32 v15, -v52, v15, v14
	v_cmp_lt_f32_e64 s0, 0, v15
	s_delay_alu instid0(VALU_DEP_1) | instskip(NEXT) | instid1(VALU_DEP_1)
	v_cndmask_b32_e64 v15, v37, v52, s0
	v_mul_f32_e32 v37, 0x37800000, v15
	s_delay_alu instid0(VALU_DEP_1) | instskip(SKIP_1) | instid1(VALU_DEP_2)
	v_cndmask_b32_e32 v15, v15, v37, vcc_lo
	v_cmp_class_f32_e64 vcc_lo, v14, 0x260
	v_cndmask_b32_e32 v118, v15, v14, vcc_lo
	scratch_load_b32 v14, off, off offset:3396 ; 4-byte Folded Reload
	s_wait_loadcnt 0x0
	v_sub_f32_e32 v37, v14, v117
	scratch_load_b64 v[14:15], off, off offset:3400 ; 8-byte Folded Reload
	s_wait_loadcnt 0x0
	v_pk_add_f32 v[14:15], v[14:15], v[16:17] neg_lo:[0,1] neg_hi:[0,1]
	s_delay_alu instid0(VALU_DEP_1) | instskip(NEXT) | instid1(VALU_DEP_1)
	v_pk_mul_f32 v[14:15], v[14:15], v[14:15]
	v_fma_f32 v14, v37, v37, v14
	s_delay_alu instid0(VALU_DEP_1) | instskip(NEXT) | instid1(VALU_DEP_1)
	v_add_f32_e32 v14, v14, v15
	v_cmp_gt_f32_e32 vcc_lo, 0xf800000, v14
	v_mul_f32_e32 v15, 0x4f800000, v14
	s_delay_alu instid0(VALU_DEP_1) | instskip(NEXT) | instid1(VALU_DEP_1)
	v_cndmask_b32_e32 v14, v14, v15, vcc_lo
	v_sqrt_f32_e32 v15, v14
	v_nop
	s_delay_alu instid0(TRANS32_DEP_1) | instskip(NEXT) | instid1(VALU_DEP_1)
	v_add_nc_u32_e32 v37, -1, v15
	v_fma_f32 v52, -v37, v15, v14
	s_delay_alu instid0(VALU_DEP_1) | instskip(NEXT) | instid1(VALU_DEP_1)
	v_cmp_ge_f32_e64 s0, 0, v52
	v_dual_add_nc_u32 v52, 1, v15 :: v_dual_cndmask_b32 v37, v15, v37, s0
	s_delay_alu instid0(VALU_DEP_1) | instskip(NEXT) | instid1(VALU_DEP_1)
	v_fma_f32 v15, -v52, v15, v14
	v_cmp_lt_f32_e64 s0, 0, v15
	s_delay_alu instid0(VALU_DEP_1) | instskip(NEXT) | instid1(VALU_DEP_1)
	v_cndmask_b32_e64 v15, v37, v52, s0
	v_mul_f32_e32 v37, 0x37800000, v15
	s_delay_alu instid0(VALU_DEP_1) | instskip(SKIP_1) | instid1(VALU_DEP_2)
	v_cndmask_b32_e32 v15, v15, v37, vcc_lo
	v_cmp_class_f32_e64 vcc_lo, v14, 0x260
	v_cndmask_b32_e32 v119, v15, v14, vcc_lo
	s_delay_alu instid0(VALU_DEP_1) | instskip(SKIP_1) | instid1(VALU_DEP_2)
	v_pk_add_f32 v[14:15], v[118:119], v[110:111] op_sel_hi:[1,0] neg_lo:[0,1] neg_hi:[0,1]
	v_pk_fma_f32 v[52:53], v[108:109], v[118:119], 1.0 op_sel_hi:[0,1,0] neg_lo:[1,0,0] neg_hi:[1,0,0]
	v_cmp_gt_f32_e32 vcc_lo, 0, v14
	s_delay_alu instid0(VALU_DEP_3) | instskip(SKIP_3) | instid1(VALU_DEP_4)
	v_cmp_gt_f32_e64 s0, 0, v15
	v_cmp_gt_f32_e64 s1, s34, v14
	;; [unrolled: 1-line block ×3, first 2 shown]
	v_cndmask_b32_e64 v118, 0, 0x42980000, vcc_lo
	v_cndmask_b32_e64 v119, 0, 0x42980000, s0
	s_delay_alu instid0(VALU_DEP_1)
	v_pk_fma_f32 v[6:7], v[52:53], v[118:119], v[6:7]
	v_pk_fma_f32 v[52:53], s[18:19], v[14:15], 1.0 op_sel_hi:[0,1,0] neg_lo:[1,0,0] neg_hi:[1,0,0]
	v_cndmask_b32_e64 v119, 0, 1.0, s3
	v_cndmask_b32_e64 v118, 0, 1.0, s1
	v_cmp_gt_f32_e64 s1, s31, v15
	v_cmp_gt_f32_e64 s3, s31, v14
	v_cndmask_b32_e64 v53, v53, 1.0, s0
	v_cndmask_b32_e64 v52, v52, 1.0, vcc_lo
	s_and_b32 s1, s30, s1
	s_and_b32 s3, s30, s3
	s_delay_alu instid0(VALU_DEP_1) | instskip(NEXT) | instid1(VALU_DEP_1)
	v_pk_mul_f32 v[52:53], v[118:119], v[52:53]
	v_pk_mul_f32 v[52:53], v[100:101], v[52:53] op_sel_hi:[0,1]
	s_delay_alu instid0(VALU_DEP_1) | instskip(NEXT) | instid1(VALU_DEP_2)
	v_cndmask_b32_e64 v53, v53, -|v53|, s33
	v_cndmask_b32_e64 v52, v52, -|v52|, s33
	s_delay_alu instid0(VALU_DEP_1) | instskip(SKIP_3) | instid1(VALU_DEP_3)
	v_pk_fma_f32 v[6:7], v[52:53], s[12:13], v[6:7] op_sel_hi:[1,0,1]
	v_pk_fma_f32 v[52:53], v[98:99], v[14:15], 1.0 op_sel_hi:[0,1,0] neg_lo:[1,0,0] neg_hi:[1,0,0]
	v_cndmask_b32_e64 v15, 0, 1.0, s1
	v_cndmask_b32_e64 v14, 0, 1.0, s3
	;; [unrolled: 1-line block ×3, first 2 shown]
	s_delay_alu instid0(VALU_DEP_4) | instskip(NEXT) | instid1(VALU_DEP_3)
	v_cndmask_b32_e64 v52, v52, 1.0, vcc_lo
	v_pk_mul_f32 v[14:15], s[16:17], v[14:15] op_sel_hi:[0,1]
	s_delay_alu instid0(VALU_DEP_1)
	v_pk_fma_f32 v[6:7], v[52:53], v[14:15], v[6:7]
	scratch_load_b32 v14, off, off offset:3408 ; 4-byte Folded Reload
	s_wait_loadcnt 0x0
	v_sub_f32_e32 v37, v14, v117
	scratch_load_b64 v[14:15], off, off offset:3412 ; 8-byte Folded Reload
	s_wait_loadcnt 0x0
	v_pk_add_f32 v[14:15], v[14:15], v[16:17] neg_lo:[0,1] neg_hi:[0,1]
	s_delay_alu instid0(VALU_DEP_1) | instskip(NEXT) | instid1(VALU_DEP_1)
	v_pk_mul_f32 v[14:15], v[14:15], v[14:15]
	v_fma_f32 v14, v37, v37, v14
	s_delay_alu instid0(VALU_DEP_1) | instskip(NEXT) | instid1(VALU_DEP_1)
	v_add_f32_e32 v14, v14, v15
	v_cmp_gt_f32_e32 vcc_lo, 0xf800000, v14
	v_mul_f32_e32 v15, 0x4f800000, v14
	s_delay_alu instid0(VALU_DEP_1) | instskip(NEXT) | instid1(VALU_DEP_1)
	v_cndmask_b32_e32 v14, v14, v15, vcc_lo
	v_sqrt_f32_e32 v15, v14
	v_nop
	s_delay_alu instid0(TRANS32_DEP_1) | instskip(NEXT) | instid1(VALU_DEP_1)
	v_add_nc_u32_e32 v37, -1, v15
	v_fma_f32 v52, -v37, v15, v14
	s_delay_alu instid0(VALU_DEP_1) | instskip(NEXT) | instid1(VALU_DEP_1)
	v_cmp_ge_f32_e64 s0, 0, v52
	v_dual_add_nc_u32 v52, 1, v15 :: v_dual_cndmask_b32 v37, v15, v37, s0
	s_delay_alu instid0(VALU_DEP_1) | instskip(NEXT) | instid1(VALU_DEP_1)
	v_fma_f32 v15, -v52, v15, v14
	v_cmp_lt_f32_e64 s0, 0, v15
	s_delay_alu instid0(VALU_DEP_1) | instskip(SKIP_2) | instid1(VALU_DEP_1)
	v_cndmask_b32_e64 v15, v37, v52, s0
	scratch_load_b64 v[52:53], off, off offset:3424 ; 8-byte Folded Reload
	v_mul_f32_e32 v37, 0x37800000, v15
	v_cndmask_b32_e32 v15, v15, v37, vcc_lo
	v_cmp_class_f32_e64 vcc_lo, v14, 0x260
	s_delay_alu instid0(VALU_DEP_2) | instskip(SKIP_3) | instid1(VALU_DEP_1)
	v_cndmask_b32_e32 v14, v15, v14, vcc_lo
	scratch_load_b32 v15, off, off offset:3420 ; 4-byte Folded Reload
	s_wait_loadcnt 0x1
	v_pk_add_f32 v[52:53], v[52:53], v[16:17] neg_lo:[0,1] neg_hi:[0,1]
	v_pk_mul_f32 v[52:53], v[52:53], v[52:53]
	s_wait_loadcnt 0x0
	v_sub_f32_e32 v15, v15, v117
	s_delay_alu instid0(VALU_DEP_1) | instskip(NEXT) | instid1(VALU_DEP_1)
	v_fma_f32 v15, v15, v15, v52
	v_add_f32_e32 v15, v15, v53
	s_delay_alu instid0(VALU_DEP_1) | instskip(SKIP_1) | instid1(VALU_DEP_1)
	v_cmp_gt_f32_e32 vcc_lo, 0xf800000, v15
	v_mul_f32_e32 v37, 0x4f800000, v15
	v_cndmask_b32_e32 v15, v15, v37, vcc_lo
	s_delay_alu instid0(VALU_DEP_1) | instskip(SKIP_1) | instid1(TRANS32_DEP_1)
	v_sqrt_f32_e32 v37, v15
	v_nop
	v_add_nc_u32_e32 v52, -1, v37
	s_delay_alu instid0(VALU_DEP_1) | instskip(NEXT) | instid1(VALU_DEP_1)
	v_fma_f32 v53, -v52, v37, v15
	v_cmp_ge_f32_e64 s0, 0, v53
	s_delay_alu instid0(VALU_DEP_1) | instskip(NEXT) | instid1(VALU_DEP_1)
	v_dual_add_nc_u32 v53, 1, v37 :: v_dual_cndmask_b32 v52, v37, v52, s0
	v_fma_f32 v37, -v53, v37, v15
	s_delay_alu instid0(VALU_DEP_1) | instskip(NEXT) | instid1(VALU_DEP_1)
	v_cmp_lt_f32_e64 s0, 0, v37
	v_cndmask_b32_e64 v37, v52, v53, s0
	s_delay_alu instid0(VALU_DEP_1) | instskip(NEXT) | instid1(VALU_DEP_1)
	v_mul_f32_e32 v52, 0x37800000, v37
	v_cndmask_b32_e32 v37, v37, v52, vcc_lo
	v_cmp_class_f32_e64 vcc_lo, v15, 0x260
	s_delay_alu instid0(VALU_DEP_2) | instskip(NEXT) | instid1(VALU_DEP_1)
	v_cndmask_b32_e32 v15, v37, v15, vcc_lo
	v_pk_add_f32 v[52:53], v[14:15], v[110:111] op_sel_hi:[1,0] neg_lo:[0,1] neg_hi:[0,1]
	v_pk_fma_f32 v[14:15], v[108:109], v[14:15], 1.0 op_sel_hi:[0,1,0] neg_lo:[1,0,0] neg_hi:[1,0,0]
	s_delay_alu instid0(VALU_DEP_2) | instskip(NEXT) | instid1(VALU_DEP_3)
	v_cmp_gt_f32_e32 vcc_lo, 0, v52
	v_cmp_gt_f32_e64 s0, 0, v53
	v_cmp_gt_f32_e64 s1, s34, v52
	;; [unrolled: 1-line block ×3, first 2 shown]
	v_cndmask_b32_e64 v118, 0, 0x42980000, vcc_lo
	s_delay_alu instid0(VALU_DEP_4) | instskip(NEXT) | instid1(VALU_DEP_1)
	v_cndmask_b32_e64 v119, 0, 0x42980000, s0
	v_pk_fma_f32 v[14:15], v[14:15], v[118:119], v[68:69]
	v_pk_fma_f32 v[68:69], s[18:19], v[52:53], 1.0 op_sel_hi:[0,1,0] neg_lo:[1,0,0] neg_hi:[1,0,0]
	v_cndmask_b32_e64 v119, 0, 1.0, s3
	v_cndmask_b32_e64 v118, 0, 1.0, s1
	v_cmp_gt_f32_e64 s1, s31, v53
	v_cmp_gt_f32_e64 s3, s31, v52
	v_cndmask_b32_e64 v69, v69, 1.0, s0
	v_cndmask_b32_e64 v68, v68, 1.0, vcc_lo
	s_and_b32 s1, s30, s1
	s_and_b32 s3, s30, s3
	s_delay_alu instid0(VALU_DEP_1) | instskip(NEXT) | instid1(VALU_DEP_1)
	v_pk_mul_f32 v[68:69], v[118:119], v[68:69]
	v_pk_mul_f32 v[68:69], v[100:101], v[68:69] op_sel_hi:[0,1]
	s_delay_alu instid0(VALU_DEP_1) | instskip(NEXT) | instid1(VALU_DEP_2)
	v_cndmask_b32_e64 v69, v69, -|v69|, s33
	v_cndmask_b32_e64 v68, v68, -|v68|, s33
	s_delay_alu instid0(VALU_DEP_1) | instskip(SKIP_3) | instid1(VALU_DEP_3)
	v_pk_fma_f32 v[14:15], v[68:69], s[12:13], v[14:15] op_sel_hi:[1,0,1]
	v_pk_fma_f32 v[68:69], v[98:99], v[52:53], 1.0 op_sel_hi:[0,1,0] neg_lo:[1,0,0] neg_hi:[1,0,0]
	v_cndmask_b32_e64 v53, 0, 1.0, s1
	v_cndmask_b32_e64 v52, 0, 1.0, s3
	;; [unrolled: 1-line block ×3, first 2 shown]
	s_delay_alu instid0(VALU_DEP_4) | instskip(NEXT) | instid1(VALU_DEP_3)
	v_cndmask_b32_e64 v68, v68, 1.0, vcc_lo
	v_pk_mul_f32 v[52:53], s[16:17], v[52:53] op_sel_hi:[0,1]
	s_delay_alu instid0(VALU_DEP_1)
	v_pk_fma_f32 v[68:69], v[68:69], v[52:53], v[14:15]
	scratch_load_b32 v14, off, off offset:3432 ; 4-byte Folded Reload
	s_wait_loadcnt 0x0
	v_sub_f32_e32 v37, v14, v117
	scratch_load_b64 v[14:15], off, off offset:3436 ; 8-byte Folded Reload
	s_wait_loadcnt 0x0
	v_pk_add_f32 v[14:15], v[14:15], v[16:17] neg_lo:[0,1] neg_hi:[0,1]
	s_delay_alu instid0(VALU_DEP_1) | instskip(NEXT) | instid1(VALU_DEP_1)
	v_pk_mul_f32 v[14:15], v[14:15], v[14:15]
	v_fma_f32 v14, v37, v37, v14
	s_delay_alu instid0(VALU_DEP_1) | instskip(NEXT) | instid1(VALU_DEP_1)
	v_add_f32_e32 v14, v14, v15
	v_cmp_gt_f32_e32 vcc_lo, 0xf800000, v14
	v_mul_f32_e32 v15, 0x4f800000, v14
	s_delay_alu instid0(VALU_DEP_1) | instskip(NEXT) | instid1(VALU_DEP_1)
	v_cndmask_b32_e32 v14, v14, v15, vcc_lo
	v_sqrt_f32_e32 v15, v14
	v_nop
	s_delay_alu instid0(TRANS32_DEP_1) | instskip(NEXT) | instid1(VALU_DEP_1)
	v_add_nc_u32_e32 v37, -1, v15
	v_fma_f32 v52, -v37, v15, v14
	s_delay_alu instid0(VALU_DEP_1) | instskip(NEXT) | instid1(VALU_DEP_1)
	v_cmp_ge_f32_e64 s0, 0, v52
	v_dual_add_nc_u32 v52, 1, v15 :: v_dual_cndmask_b32 v37, v15, v37, s0
	s_delay_alu instid0(VALU_DEP_1) | instskip(NEXT) | instid1(VALU_DEP_1)
	v_fma_f32 v15, -v52, v15, v14
	v_cmp_lt_f32_e64 s0, 0, v15
	s_delay_alu instid0(VALU_DEP_1) | instskip(NEXT) | instid1(VALU_DEP_1)
	v_cndmask_b32_e64 v15, v37, v52, s0
	v_mul_f32_e32 v37, 0x37800000, v15
	s_delay_alu instid0(VALU_DEP_1) | instskip(SKIP_1) | instid1(VALU_DEP_2)
	v_cndmask_b32_e32 v15, v15, v37, vcc_lo
	v_cmp_class_f32_e64 vcc_lo, v14, 0x260
	v_cndmask_b32_e32 v118, v15, v14, vcc_lo
	scratch_load_b32 v14, off, off offset:3444 ; 4-byte Folded Reload
	s_wait_loadcnt 0x0
	v_sub_f32_e32 v37, v14, v117
	scratch_load_b64 v[14:15], off, off offset:3448 ; 8-byte Folded Reload
	s_wait_loadcnt 0x0
	v_pk_add_f32 v[14:15], v[14:15], v[16:17] neg_lo:[0,1] neg_hi:[0,1]
	s_delay_alu instid0(VALU_DEP_1) | instskip(NEXT) | instid1(VALU_DEP_1)
	v_pk_mul_f32 v[14:15], v[14:15], v[14:15]
	v_fma_f32 v14, v37, v37, v14
	s_delay_alu instid0(VALU_DEP_1) | instskip(NEXT) | instid1(VALU_DEP_1)
	v_add_f32_e32 v14, v14, v15
	v_cmp_gt_f32_e32 vcc_lo, 0xf800000, v14
	v_mul_f32_e32 v15, 0x4f800000, v14
	s_delay_alu instid0(VALU_DEP_1) | instskip(NEXT) | instid1(VALU_DEP_1)
	v_cndmask_b32_e32 v14, v14, v15, vcc_lo
	v_sqrt_f32_e32 v15, v14
	v_nop
	s_delay_alu instid0(TRANS32_DEP_1) | instskip(NEXT) | instid1(VALU_DEP_1)
	v_add_nc_u32_e32 v37, -1, v15
	v_fma_f32 v52, -v37, v15, v14
	s_delay_alu instid0(VALU_DEP_1) | instskip(NEXT) | instid1(VALU_DEP_1)
	v_cmp_ge_f32_e64 s0, 0, v52
	v_dual_add_nc_u32 v52, 1, v15 :: v_dual_cndmask_b32 v37, v15, v37, s0
	s_delay_alu instid0(VALU_DEP_1) | instskip(NEXT) | instid1(VALU_DEP_1)
	v_fma_f32 v15, -v52, v15, v14
	v_cmp_lt_f32_e64 s0, 0, v15
	s_delay_alu instid0(VALU_DEP_1) | instskip(NEXT) | instid1(VALU_DEP_1)
	v_cndmask_b32_e64 v15, v37, v52, s0
	v_mul_f32_e32 v37, 0x37800000, v15
	s_delay_alu instid0(VALU_DEP_1) | instskip(SKIP_1) | instid1(VALU_DEP_2)
	v_cndmask_b32_e32 v15, v15, v37, vcc_lo
	v_cmp_class_f32_e64 vcc_lo, v14, 0x260
	v_cndmask_b32_e32 v119, v15, v14, vcc_lo
	s_delay_alu instid0(VALU_DEP_1) | instskip(SKIP_1) | instid1(VALU_DEP_2)
	v_pk_add_f32 v[14:15], v[118:119], v[110:111] op_sel_hi:[1,0] neg_lo:[0,1] neg_hi:[0,1]
	v_pk_fma_f32 v[52:53], v[108:109], v[118:119], 1.0 op_sel_hi:[0,1,0] neg_lo:[1,0,0] neg_hi:[1,0,0]
	v_cmp_gt_f32_e32 vcc_lo, 0, v14
	s_delay_alu instid0(VALU_DEP_3) | instskip(SKIP_3) | instid1(VALU_DEP_4)
	v_cmp_gt_f32_e64 s0, 0, v15
	v_cmp_gt_f32_e64 s1, s34, v14
	;; [unrolled: 1-line block ×3, first 2 shown]
	v_cndmask_b32_e64 v118, 0, 0x42980000, vcc_lo
	v_cndmask_b32_e64 v119, 0, 0x42980000, s0
	s_delay_alu instid0(VALU_DEP_1)
	v_pk_fma_f32 v[52:53], v[52:53], v[118:119], v[70:71]
	v_pk_fma_f32 v[70:71], s[18:19], v[14:15], 1.0 op_sel_hi:[0,1,0] neg_lo:[1,0,0] neg_hi:[1,0,0]
	v_cndmask_b32_e64 v119, 0, 1.0, s3
	v_cndmask_b32_e64 v118, 0, 1.0, s1
	v_cmp_gt_f32_e64 s1, s31, v15
	v_cmp_gt_f32_e64 s3, s31, v14
	v_cndmask_b32_e64 v71, v71, 1.0, s0
	v_cndmask_b32_e64 v70, v70, 1.0, vcc_lo
	s_and_b32 s1, s30, s1
	s_and_b32 s3, s30, s3
	s_delay_alu instid0(VALU_DEP_1) | instskip(NEXT) | instid1(VALU_DEP_1)
	v_pk_mul_f32 v[70:71], v[118:119], v[70:71]
	v_pk_mul_f32 v[70:71], v[100:101], v[70:71] op_sel_hi:[0,1]
	s_delay_alu instid0(VALU_DEP_1) | instskip(NEXT) | instid1(VALU_DEP_2)
	v_cndmask_b32_e64 v71, v71, -|v71|, s33
	v_cndmask_b32_e64 v70, v70, -|v70|, s33
	s_delay_alu instid0(VALU_DEP_1) | instskip(SKIP_3) | instid1(VALU_DEP_3)
	v_pk_fma_f32 v[52:53], v[70:71], s[12:13], v[52:53] op_sel_hi:[1,0,1]
	v_pk_fma_f32 v[70:71], v[98:99], v[14:15], 1.0 op_sel_hi:[0,1,0] neg_lo:[1,0,0] neg_hi:[1,0,0]
	v_cndmask_b32_e64 v15, 0, 1.0, s1
	v_cndmask_b32_e64 v14, 0, 1.0, s3
	;; [unrolled: 1-line block ×3, first 2 shown]
	s_delay_alu instid0(VALU_DEP_4) | instskip(NEXT) | instid1(VALU_DEP_3)
	v_cndmask_b32_e64 v70, v70, 1.0, vcc_lo
	v_pk_mul_f32 v[14:15], s[16:17], v[14:15] op_sel_hi:[0,1]
	s_delay_alu instid0(VALU_DEP_1)
	v_pk_fma_f32 v[70:71], v[70:71], v[14:15], v[52:53]
	scratch_load_b32 v14, off, off offset:3456 ; 4-byte Folded Reload
	s_wait_loadcnt 0x0
	v_sub_f32_e32 v37, v14, v117
	scratch_load_b64 v[14:15], off, off offset:3460 ; 8-byte Folded Reload
	s_wait_loadcnt 0x0
	v_pk_add_f32 v[14:15], v[14:15], v[16:17] neg_lo:[0,1] neg_hi:[0,1]
	s_delay_alu instid0(VALU_DEP_1) | instskip(NEXT) | instid1(VALU_DEP_1)
	v_pk_mul_f32 v[14:15], v[14:15], v[14:15]
	v_fma_f32 v14, v37, v37, v14
	s_delay_alu instid0(VALU_DEP_1) | instskip(NEXT) | instid1(VALU_DEP_1)
	v_add_f32_e32 v14, v14, v15
	v_cmp_gt_f32_e32 vcc_lo, 0xf800000, v14
	v_mul_f32_e32 v15, 0x4f800000, v14
	s_delay_alu instid0(VALU_DEP_1) | instskip(NEXT) | instid1(VALU_DEP_1)
	v_cndmask_b32_e32 v14, v14, v15, vcc_lo
	v_sqrt_f32_e32 v15, v14
	v_nop
	s_delay_alu instid0(TRANS32_DEP_1) | instskip(NEXT) | instid1(VALU_DEP_1)
	v_add_nc_u32_e32 v37, -1, v15
	v_fma_f32 v52, -v37, v15, v14
	s_delay_alu instid0(VALU_DEP_1) | instskip(NEXT) | instid1(VALU_DEP_1)
	v_cmp_ge_f32_e64 s0, 0, v52
	v_dual_add_nc_u32 v52, 1, v15 :: v_dual_cndmask_b32 v37, v15, v37, s0
	s_delay_alu instid0(VALU_DEP_1) | instskip(NEXT) | instid1(VALU_DEP_1)
	v_fma_f32 v15, -v52, v15, v14
	v_cmp_lt_f32_e64 s0, 0, v15
	s_delay_alu instid0(VALU_DEP_1) | instskip(SKIP_2) | instid1(VALU_DEP_1)
	v_cndmask_b32_e64 v15, v37, v52, s0
	scratch_load_b64 v[52:53], off, off offset:3472 ; 8-byte Folded Reload
	v_mul_f32_e32 v37, 0x37800000, v15
	v_cndmask_b32_e32 v15, v15, v37, vcc_lo
	v_cmp_class_f32_e64 vcc_lo, v14, 0x260
	s_delay_alu instid0(VALU_DEP_2) | instskip(SKIP_3) | instid1(VALU_DEP_1)
	v_cndmask_b32_e32 v14, v15, v14, vcc_lo
	scratch_load_b32 v15, off, off offset:3468 ; 4-byte Folded Reload
	s_wait_loadcnt 0x1
	v_pk_add_f32 v[52:53], v[52:53], v[16:17] neg_lo:[0,1] neg_hi:[0,1]
	v_pk_mul_f32 v[52:53], v[52:53], v[52:53]
	s_wait_loadcnt 0x0
	v_sub_f32_e32 v15, v15, v117
	s_delay_alu instid0(VALU_DEP_1) | instskip(NEXT) | instid1(VALU_DEP_1)
	v_fma_f32 v15, v15, v15, v52
	v_add_f32_e32 v15, v15, v53
	s_delay_alu instid0(VALU_DEP_1) | instskip(SKIP_1) | instid1(VALU_DEP_1)
	v_cmp_gt_f32_e32 vcc_lo, 0xf800000, v15
	v_mul_f32_e32 v37, 0x4f800000, v15
	v_cndmask_b32_e32 v15, v15, v37, vcc_lo
	s_delay_alu instid0(VALU_DEP_1) | instskip(SKIP_1) | instid1(TRANS32_DEP_1)
	v_sqrt_f32_e32 v37, v15
	v_nop
	v_add_nc_u32_e32 v52, -1, v37
	s_delay_alu instid0(VALU_DEP_1) | instskip(NEXT) | instid1(VALU_DEP_1)
	v_fma_f32 v53, -v52, v37, v15
	v_cmp_ge_f32_e64 s0, 0, v53
	s_delay_alu instid0(VALU_DEP_1) | instskip(NEXT) | instid1(VALU_DEP_1)
	v_dual_add_nc_u32 v53, 1, v37 :: v_dual_cndmask_b32 v52, v37, v52, s0
	v_fma_f32 v37, -v53, v37, v15
	s_delay_alu instid0(VALU_DEP_1) | instskip(NEXT) | instid1(VALU_DEP_1)
	v_cmp_lt_f32_e64 s0, 0, v37
	v_cndmask_b32_e64 v37, v52, v53, s0
	s_delay_alu instid0(VALU_DEP_1) | instskip(NEXT) | instid1(VALU_DEP_1)
	v_mul_f32_e32 v52, 0x37800000, v37
	v_cndmask_b32_e32 v37, v37, v52, vcc_lo
	v_cmp_class_f32_e64 vcc_lo, v15, 0x260
	s_delay_alu instid0(VALU_DEP_2) | instskip(NEXT) | instid1(VALU_DEP_1)
	v_cndmask_b32_e32 v15, v37, v15, vcc_lo
	v_pk_add_f32 v[52:53], v[14:15], v[110:111] op_sel_hi:[1,0] neg_lo:[0,1] neg_hi:[0,1]
	v_pk_fma_f32 v[14:15], v[108:109], v[14:15], 1.0 op_sel_hi:[0,1,0] neg_lo:[1,0,0] neg_hi:[1,0,0]
	s_delay_alu instid0(VALU_DEP_2) | instskip(NEXT) | instid1(VALU_DEP_3)
	v_cmp_gt_f32_e32 vcc_lo, 0, v52
	v_cmp_gt_f32_e64 s0, 0, v53
	v_cmp_gt_f32_e64 s1, s34, v52
	v_cmp_gt_f32_e64 s3, s34, v53
	v_cndmask_b32_e64 v118, 0, 0x42980000, vcc_lo
	s_delay_alu instid0(VALU_DEP_4) | instskip(NEXT) | instid1(VALU_DEP_1)
	v_cndmask_b32_e64 v119, 0, 0x42980000, s0
	v_pk_fma_f32 v[14:15], v[14:15], v[118:119], v[32:33]
	v_pk_fma_f32 v[32:33], s[18:19], v[52:53], 1.0 op_sel_hi:[0,1,0] neg_lo:[1,0,0] neg_hi:[1,0,0]
	v_cndmask_b32_e64 v119, 0, 1.0, s3
	v_cndmask_b32_e64 v118, 0, 1.0, s1
	v_cmp_gt_f32_e64 s1, s31, v53
	v_cmp_gt_f32_e64 s3, s31, v52
	v_cndmask_b32_e64 v33, v33, 1.0, s0
	v_cndmask_b32_e64 v32, v32, 1.0, vcc_lo
	s_and_b32 s1, s30, s1
	s_and_b32 s3, s30, s3
	s_delay_alu instid0(VALU_DEP_1) | instskip(NEXT) | instid1(VALU_DEP_1)
	v_pk_mul_f32 v[32:33], v[118:119], v[32:33]
	v_pk_mul_f32 v[32:33], v[100:101], v[32:33] op_sel_hi:[0,1]
	s_delay_alu instid0(VALU_DEP_1) | instskip(NEXT) | instid1(VALU_DEP_2)
	v_cndmask_b32_e64 v33, v33, -|v33|, s33
	v_cndmask_b32_e64 v32, v32, -|v32|, s33
	s_delay_alu instid0(VALU_DEP_1) | instskip(SKIP_3) | instid1(VALU_DEP_3)
	v_pk_fma_f32 v[14:15], v[32:33], s[12:13], v[14:15] op_sel_hi:[1,0,1]
	v_pk_fma_f32 v[32:33], v[98:99], v[52:53], 1.0 op_sel_hi:[0,1,0] neg_lo:[1,0,0] neg_hi:[1,0,0]
	v_cndmask_b32_e64 v53, 0, 1.0, s1
	v_cndmask_b32_e64 v52, 0, 1.0, s3
	;; [unrolled: 1-line block ×3, first 2 shown]
	s_delay_alu instid0(VALU_DEP_4) | instskip(NEXT) | instid1(VALU_DEP_3)
	v_cndmask_b32_e64 v32, v32, 1.0, vcc_lo
	v_pk_mul_f32 v[52:53], s[16:17], v[52:53] op_sel_hi:[0,1]
	s_delay_alu instid0(VALU_DEP_1)
	v_pk_fma_f32 v[32:33], v[32:33], v[52:53], v[14:15]
	scratch_load_b32 v14, off, off offset:3480 ; 4-byte Folded Reload
	s_wait_loadcnt 0x0
	v_sub_f32_e32 v37, v14, v117
	scratch_load_b64 v[14:15], off, off offset:3484 ; 8-byte Folded Reload
	s_wait_loadcnt 0x0
	v_pk_add_f32 v[14:15], v[14:15], v[16:17] neg_lo:[0,1] neg_hi:[0,1]
	s_delay_alu instid0(VALU_DEP_1) | instskip(NEXT) | instid1(VALU_DEP_1)
	v_pk_mul_f32 v[14:15], v[14:15], v[14:15]
	v_fma_f32 v14, v37, v37, v14
	s_delay_alu instid0(VALU_DEP_1) | instskip(NEXT) | instid1(VALU_DEP_1)
	v_add_f32_e32 v14, v14, v15
	v_cmp_gt_f32_e32 vcc_lo, 0xf800000, v14
	v_mul_f32_e32 v15, 0x4f800000, v14
	s_delay_alu instid0(VALU_DEP_1) | instskip(NEXT) | instid1(VALU_DEP_1)
	v_cndmask_b32_e32 v14, v14, v15, vcc_lo
	v_sqrt_f32_e32 v15, v14
	v_nop
	s_delay_alu instid0(TRANS32_DEP_1) | instskip(NEXT) | instid1(VALU_DEP_1)
	v_add_nc_u32_e32 v37, -1, v15
	v_fma_f32 v52, -v37, v15, v14
	s_delay_alu instid0(VALU_DEP_1) | instskip(NEXT) | instid1(VALU_DEP_1)
	v_cmp_ge_f32_e64 s0, 0, v52
	v_dual_add_nc_u32 v52, 1, v15 :: v_dual_cndmask_b32 v37, v15, v37, s0
	s_delay_alu instid0(VALU_DEP_1) | instskip(NEXT) | instid1(VALU_DEP_1)
	v_fma_f32 v15, -v52, v15, v14
	v_cmp_lt_f32_e64 s0, 0, v15
	s_delay_alu instid0(VALU_DEP_1) | instskip(NEXT) | instid1(VALU_DEP_1)
	v_cndmask_b32_e64 v15, v37, v52, s0
	v_mul_f32_e32 v37, 0x37800000, v15
	s_delay_alu instid0(VALU_DEP_1) | instskip(SKIP_1) | instid1(VALU_DEP_2)
	v_cndmask_b32_e32 v15, v15, v37, vcc_lo
	v_cmp_class_f32_e64 vcc_lo, v14, 0x260
	v_cndmask_b32_e32 v118, v15, v14, vcc_lo
	scratch_load_b32 v14, off, off offset:3492 ; 4-byte Folded Reload
	s_wait_loadcnt 0x0
	v_sub_f32_e32 v37, v14, v117
	scratch_load_b64 v[14:15], off, off offset:3496 ; 8-byte Folded Reload
	s_wait_loadcnt 0x0
	v_pk_add_f32 v[14:15], v[14:15], v[16:17] neg_lo:[0,1] neg_hi:[0,1]
	s_delay_alu instid0(VALU_DEP_1) | instskip(NEXT) | instid1(VALU_DEP_1)
	v_pk_mul_f32 v[14:15], v[14:15], v[14:15]
	v_fma_f32 v14, v37, v37, v14
	s_delay_alu instid0(VALU_DEP_1) | instskip(NEXT) | instid1(VALU_DEP_1)
	v_add_f32_e32 v14, v14, v15
	v_cmp_gt_f32_e32 vcc_lo, 0xf800000, v14
	v_mul_f32_e32 v15, 0x4f800000, v14
	s_delay_alu instid0(VALU_DEP_1) | instskip(NEXT) | instid1(VALU_DEP_1)
	v_cndmask_b32_e32 v14, v14, v15, vcc_lo
	v_sqrt_f32_e32 v15, v14
	v_nop
	s_delay_alu instid0(TRANS32_DEP_1) | instskip(NEXT) | instid1(VALU_DEP_1)
	v_add_nc_u32_e32 v37, -1, v15
	v_fma_f32 v52, -v37, v15, v14
	s_delay_alu instid0(VALU_DEP_1) | instskip(NEXT) | instid1(VALU_DEP_1)
	v_cmp_ge_f32_e64 s0, 0, v52
	v_dual_add_nc_u32 v52, 1, v15 :: v_dual_cndmask_b32 v37, v15, v37, s0
	s_delay_alu instid0(VALU_DEP_1) | instskip(NEXT) | instid1(VALU_DEP_1)
	v_fma_f32 v15, -v52, v15, v14
	v_cmp_lt_f32_e64 s0, 0, v15
	s_delay_alu instid0(VALU_DEP_1) | instskip(NEXT) | instid1(VALU_DEP_1)
	v_cndmask_b32_e64 v15, v37, v52, s0
	v_mul_f32_e32 v37, 0x37800000, v15
	s_delay_alu instid0(VALU_DEP_1) | instskip(SKIP_1) | instid1(VALU_DEP_2)
	v_cndmask_b32_e32 v15, v15, v37, vcc_lo
	v_cmp_class_f32_e64 vcc_lo, v14, 0x260
	v_cndmask_b32_e32 v119, v15, v14, vcc_lo
	s_delay_alu instid0(VALU_DEP_1) | instskip(SKIP_1) | instid1(VALU_DEP_2)
	v_pk_add_f32 v[14:15], v[118:119], v[110:111] op_sel_hi:[1,0] neg_lo:[0,1] neg_hi:[0,1]
	v_pk_fma_f32 v[52:53], v[108:109], v[118:119], 1.0 op_sel_hi:[0,1,0] neg_lo:[1,0,0] neg_hi:[1,0,0]
	v_cmp_gt_f32_e32 vcc_lo, 0, v14
	s_delay_alu instid0(VALU_DEP_3) | instskip(SKIP_3) | instid1(VALU_DEP_4)
	v_cmp_gt_f32_e64 s0, 0, v15
	v_cmp_gt_f32_e64 s1, s34, v14
	;; [unrolled: 1-line block ×3, first 2 shown]
	v_cndmask_b32_e64 v118, 0, 0x42980000, vcc_lo
	v_cndmask_b32_e64 v119, 0, 0x42980000, s0
	s_delay_alu instid0(VALU_DEP_1)
	v_pk_fma_f32 v[34:35], v[52:53], v[118:119], v[34:35]
	v_pk_fma_f32 v[52:53], s[18:19], v[14:15], 1.0 op_sel_hi:[0,1,0] neg_lo:[1,0,0] neg_hi:[1,0,0]
	v_cndmask_b32_e64 v119, 0, 1.0, s3
	v_cndmask_b32_e64 v118, 0, 1.0, s1
	v_cmp_gt_f32_e64 s1, s31, v15
	v_cmp_gt_f32_e64 s3, s31, v14
	v_cndmask_b32_e64 v53, v53, 1.0, s0
	v_cndmask_b32_e64 v52, v52, 1.0, vcc_lo
	s_and_b32 s1, s30, s1
	s_and_b32 s3, s30, s3
	s_delay_alu instid0(VALU_DEP_1) | instskip(NEXT) | instid1(VALU_DEP_1)
	v_pk_mul_f32 v[52:53], v[118:119], v[52:53]
	v_pk_mul_f32 v[52:53], v[100:101], v[52:53] op_sel_hi:[0,1]
	s_delay_alu instid0(VALU_DEP_1) | instskip(NEXT) | instid1(VALU_DEP_2)
	v_cndmask_b32_e64 v53, v53, -|v53|, s33
	v_cndmask_b32_e64 v52, v52, -|v52|, s33
	s_delay_alu instid0(VALU_DEP_1) | instskip(SKIP_3) | instid1(VALU_DEP_3)
	v_pk_fma_f32 v[34:35], v[52:53], s[12:13], v[34:35] op_sel_hi:[1,0,1]
	v_pk_fma_f32 v[52:53], v[98:99], v[14:15], 1.0 op_sel_hi:[0,1,0] neg_lo:[1,0,0] neg_hi:[1,0,0]
	v_cndmask_b32_e64 v15, 0, 1.0, s1
	v_cndmask_b32_e64 v14, 0, 1.0, s3
	;; [unrolled: 1-line block ×3, first 2 shown]
	s_delay_alu instid0(VALU_DEP_4) | instskip(NEXT) | instid1(VALU_DEP_3)
	v_cndmask_b32_e64 v52, v52, 1.0, vcc_lo
	v_pk_mul_f32 v[14:15], s[16:17], v[14:15] op_sel_hi:[0,1]
	s_delay_alu instid0(VALU_DEP_1)
	v_pk_fma_f32 v[34:35], v[52:53], v[14:15], v[34:35]
	scratch_load_b32 v14, off, off offset:3504 ; 4-byte Folded Reload
	s_wait_loadcnt 0x0
	v_sub_f32_e32 v37, v14, v117
	scratch_load_b64 v[14:15], off, off offset:3508 ; 8-byte Folded Reload
	s_wait_loadcnt 0x0
	v_pk_add_f32 v[14:15], v[14:15], v[16:17] neg_lo:[0,1] neg_hi:[0,1]
	s_delay_alu instid0(VALU_DEP_1) | instskip(NEXT) | instid1(VALU_DEP_1)
	v_pk_mul_f32 v[14:15], v[14:15], v[14:15]
	v_fma_f32 v14, v37, v37, v14
	s_delay_alu instid0(VALU_DEP_1) | instskip(NEXT) | instid1(VALU_DEP_1)
	v_add_f32_e32 v14, v14, v15
	v_cmp_gt_f32_e32 vcc_lo, 0xf800000, v14
	v_mul_f32_e32 v15, 0x4f800000, v14
	s_delay_alu instid0(VALU_DEP_1) | instskip(NEXT) | instid1(VALU_DEP_1)
	v_cndmask_b32_e32 v14, v14, v15, vcc_lo
	v_sqrt_f32_e32 v15, v14
	v_nop
	s_delay_alu instid0(TRANS32_DEP_1) | instskip(NEXT) | instid1(VALU_DEP_1)
	v_add_nc_u32_e32 v37, -1, v15
	v_fma_f32 v52, -v37, v15, v14
	s_delay_alu instid0(VALU_DEP_1) | instskip(NEXT) | instid1(VALU_DEP_1)
	v_cmp_ge_f32_e64 s0, 0, v52
	v_dual_add_nc_u32 v52, 1, v15 :: v_dual_cndmask_b32 v37, v15, v37, s0
	s_delay_alu instid0(VALU_DEP_1) | instskip(NEXT) | instid1(VALU_DEP_1)
	v_fma_f32 v15, -v52, v15, v14
	v_cmp_lt_f32_e64 s0, 0, v15
	s_delay_alu instid0(VALU_DEP_1) | instskip(SKIP_2) | instid1(VALU_DEP_1)
	v_cndmask_b32_e64 v15, v37, v52, s0
	scratch_load_b64 v[52:53], off, off offset:3520 ; 8-byte Folded Reload
	v_mul_f32_e32 v37, 0x37800000, v15
	v_cndmask_b32_e32 v15, v15, v37, vcc_lo
	v_cmp_class_f32_e64 vcc_lo, v14, 0x260
	s_delay_alu instid0(VALU_DEP_2) | instskip(SKIP_3) | instid1(VALU_DEP_1)
	v_cndmask_b32_e32 v14, v15, v14, vcc_lo
	scratch_load_b32 v15, off, off offset:3516 ; 4-byte Folded Reload
	s_wait_loadcnt 0x1
	v_pk_add_f32 v[52:53], v[52:53], v[16:17] neg_lo:[0,1] neg_hi:[0,1]
	v_pk_mul_f32 v[52:53], v[52:53], v[52:53]
	s_wait_loadcnt 0x0
	v_sub_f32_e32 v15, v15, v117
	s_delay_alu instid0(VALU_DEP_1) | instskip(NEXT) | instid1(VALU_DEP_1)
	v_fma_f32 v15, v15, v15, v52
	v_add_f32_e32 v15, v15, v53
	s_delay_alu instid0(VALU_DEP_1) | instskip(SKIP_1) | instid1(VALU_DEP_1)
	v_cmp_gt_f32_e32 vcc_lo, 0xf800000, v15
	v_mul_f32_e32 v37, 0x4f800000, v15
	v_cndmask_b32_e32 v15, v15, v37, vcc_lo
	s_delay_alu instid0(VALU_DEP_1) | instskip(SKIP_1) | instid1(TRANS32_DEP_1)
	v_sqrt_f32_e32 v37, v15
	v_nop
	v_add_nc_u32_e32 v52, -1, v37
	s_delay_alu instid0(VALU_DEP_1) | instskip(NEXT) | instid1(VALU_DEP_1)
	v_fma_f32 v53, -v52, v37, v15
	v_cmp_ge_f32_e64 s0, 0, v53
	s_delay_alu instid0(VALU_DEP_1) | instskip(NEXT) | instid1(VALU_DEP_1)
	v_dual_add_nc_u32 v53, 1, v37 :: v_dual_cndmask_b32 v52, v37, v52, s0
	v_fma_f32 v37, -v53, v37, v15
	s_delay_alu instid0(VALU_DEP_1) | instskip(NEXT) | instid1(VALU_DEP_1)
	v_cmp_lt_f32_e64 s0, 0, v37
	v_cndmask_b32_e64 v37, v52, v53, s0
	s_delay_alu instid0(VALU_DEP_1) | instskip(NEXT) | instid1(VALU_DEP_1)
	v_mul_f32_e32 v52, 0x37800000, v37
	v_cndmask_b32_e32 v37, v37, v52, vcc_lo
	v_cmp_class_f32_e64 vcc_lo, v15, 0x260
	s_delay_alu instid0(VALU_DEP_2) | instskip(NEXT) | instid1(VALU_DEP_1)
	v_cndmask_b32_e32 v15, v37, v15, vcc_lo
	v_pk_add_f32 v[52:53], v[14:15], v[110:111] op_sel_hi:[1,0] neg_lo:[0,1] neg_hi:[0,1]
	v_pk_fma_f32 v[14:15], v[108:109], v[14:15], 1.0 op_sel_hi:[0,1,0] neg_lo:[1,0,0] neg_hi:[1,0,0]
	s_delay_alu instid0(VALU_DEP_2) | instskip(NEXT) | instid1(VALU_DEP_3)
	v_cmp_gt_f32_e32 vcc_lo, 0, v52
	v_cmp_gt_f32_e64 s0, 0, v53
	v_cmp_gt_f32_e64 s1, s34, v52
	;; [unrolled: 1-line block ×3, first 2 shown]
	v_cndmask_b32_e64 v118, 0, 0x42980000, vcc_lo
	s_delay_alu instid0(VALU_DEP_4) | instskip(NEXT) | instid1(VALU_DEP_1)
	v_cndmask_b32_e64 v119, 0, 0x42980000, s0
	v_pk_fma_f32 v[14:15], v[14:15], v[118:119], v[124:125]
	v_pk_fma_f32 v[118:119], s[18:19], v[52:53], 1.0 op_sel_hi:[0,1,0] neg_lo:[1,0,0] neg_hi:[1,0,0]
	v_cndmask_b32_e64 v125, 0, 1.0, s3
	v_cndmask_b32_e64 v124, 0, 1.0, s1
	v_cmp_gt_f32_e64 s1, s31, v53
	v_cmp_gt_f32_e64 s3, s31, v52
	v_cndmask_b32_e64 v119, v119, 1.0, s0
	v_cndmask_b32_e64 v118, v118, 1.0, vcc_lo
	s_and_b32 s1, s30, s1
	s_and_b32 s3, s30, s3
	s_delay_alu instid0(VALU_DEP_1) | instskip(NEXT) | instid1(VALU_DEP_1)
	v_pk_mul_f32 v[118:119], v[124:125], v[118:119]
	v_pk_mul_f32 v[118:119], v[100:101], v[118:119] op_sel_hi:[0,1]
	s_delay_alu instid0(VALU_DEP_1) | instskip(NEXT) | instid1(VALU_DEP_2)
	v_cndmask_b32_e64 v119, v119, -|v119|, s33
	v_cndmask_b32_e64 v118, v118, -|v118|, s33
	s_delay_alu instid0(VALU_DEP_1) | instskip(SKIP_3) | instid1(VALU_DEP_3)
	v_pk_fma_f32 v[14:15], v[118:119], s[12:13], v[14:15] op_sel_hi:[1,0,1]
	v_pk_fma_f32 v[118:119], v[98:99], v[52:53], 1.0 op_sel_hi:[0,1,0] neg_lo:[1,0,0] neg_hi:[1,0,0]
	v_cndmask_b32_e64 v53, 0, 1.0, s1
	v_cndmask_b32_e64 v52, 0, 1.0, s3
	;; [unrolled: 1-line block ×3, first 2 shown]
	s_delay_alu instid0(VALU_DEP_4) | instskip(NEXT) | instid1(VALU_DEP_3)
	v_cndmask_b32_e64 v118, v118, 1.0, vcc_lo
	v_pk_mul_f32 v[52:53], s[16:17], v[52:53] op_sel_hi:[0,1]
	s_delay_alu instid0(VALU_DEP_1)
	v_pk_fma_f32 v[124:125], v[118:119], v[52:53], v[14:15]
	scratch_load_b32 v14, off, off offset:3528 ; 4-byte Folded Reload
	s_wait_loadcnt 0x0
	v_sub_f32_e32 v37, v14, v117
	scratch_load_b64 v[14:15], off, off offset:3532 ; 8-byte Folded Reload
	s_wait_loadcnt 0x0
	v_pk_add_f32 v[14:15], v[14:15], v[16:17] neg_lo:[0,1] neg_hi:[0,1]
	s_delay_alu instid0(VALU_DEP_1) | instskip(NEXT) | instid1(VALU_DEP_1)
	v_pk_mul_f32 v[14:15], v[14:15], v[14:15]
	v_fma_f32 v14, v37, v37, v14
	s_delay_alu instid0(VALU_DEP_1) | instskip(NEXT) | instid1(VALU_DEP_1)
	v_add_f32_e32 v14, v14, v15
	v_cmp_gt_f32_e32 vcc_lo, 0xf800000, v14
	v_mul_f32_e32 v15, 0x4f800000, v14
	s_delay_alu instid0(VALU_DEP_1) | instskip(NEXT) | instid1(VALU_DEP_1)
	v_cndmask_b32_e32 v14, v14, v15, vcc_lo
	v_sqrt_f32_e32 v15, v14
	v_nop
	s_delay_alu instid0(TRANS32_DEP_1) | instskip(NEXT) | instid1(VALU_DEP_1)
	v_add_nc_u32_e32 v37, -1, v15
	v_fma_f32 v52, -v37, v15, v14
	s_delay_alu instid0(VALU_DEP_1) | instskip(NEXT) | instid1(VALU_DEP_1)
	v_cmp_ge_f32_e64 s0, 0, v52
	v_dual_add_nc_u32 v52, 1, v15 :: v_dual_cndmask_b32 v37, v15, v37, s0
	s_delay_alu instid0(VALU_DEP_1) | instskip(NEXT) | instid1(VALU_DEP_1)
	v_fma_f32 v15, -v52, v15, v14
	v_cmp_lt_f32_e64 s0, 0, v15
	s_delay_alu instid0(VALU_DEP_1) | instskip(NEXT) | instid1(VALU_DEP_1)
	v_cndmask_b32_e64 v15, v37, v52, s0
	v_mul_f32_e32 v37, 0x37800000, v15
	s_delay_alu instid0(VALU_DEP_1) | instskip(SKIP_1) | instid1(VALU_DEP_2)
	v_cndmask_b32_e32 v15, v15, v37, vcc_lo
	v_cmp_class_f32_e64 vcc_lo, v14, 0x260
	v_cndmask_b32_e32 v118, v15, v14, vcc_lo
	scratch_load_b32 v14, off, off offset:3540 ; 4-byte Folded Reload
	s_wait_loadcnt 0x0
	v_sub_f32_e32 v37, v14, v117
	scratch_load_b64 v[14:15], off, off offset:3544 ; 8-byte Folded Reload
	s_wait_loadcnt 0x0
	v_pk_add_f32 v[14:15], v[14:15], v[16:17] neg_lo:[0,1] neg_hi:[0,1]
	s_delay_alu instid0(VALU_DEP_1) | instskip(NEXT) | instid1(VALU_DEP_1)
	v_pk_mul_f32 v[14:15], v[14:15], v[14:15]
	v_fma_f32 v14, v37, v37, v14
	s_delay_alu instid0(VALU_DEP_1) | instskip(NEXT) | instid1(VALU_DEP_1)
	v_add_f32_e32 v14, v14, v15
	v_cmp_gt_f32_e32 vcc_lo, 0xf800000, v14
	v_mul_f32_e32 v15, 0x4f800000, v14
	s_delay_alu instid0(VALU_DEP_1) | instskip(NEXT) | instid1(VALU_DEP_1)
	v_cndmask_b32_e32 v14, v14, v15, vcc_lo
	v_sqrt_f32_e32 v15, v14
	v_nop
	s_delay_alu instid0(TRANS32_DEP_1) | instskip(NEXT) | instid1(VALU_DEP_1)
	v_add_nc_u32_e32 v37, -1, v15
	v_fma_f32 v52, -v37, v15, v14
	s_delay_alu instid0(VALU_DEP_1) | instskip(NEXT) | instid1(VALU_DEP_1)
	v_cmp_ge_f32_e64 s0, 0, v52
	v_dual_add_nc_u32 v52, 1, v15 :: v_dual_cndmask_b32 v37, v15, v37, s0
	s_delay_alu instid0(VALU_DEP_1) | instskip(NEXT) | instid1(VALU_DEP_1)
	v_fma_f32 v15, -v52, v15, v14
	v_cmp_lt_f32_e64 s0, 0, v15
	s_delay_alu instid0(VALU_DEP_1) | instskip(NEXT) | instid1(VALU_DEP_1)
	v_cndmask_b32_e64 v15, v37, v52, s0
	v_mul_f32_e32 v37, 0x37800000, v15
	s_delay_alu instid0(VALU_DEP_1) | instskip(SKIP_1) | instid1(VALU_DEP_2)
	v_cndmask_b32_e32 v15, v15, v37, vcc_lo
	v_cmp_class_f32_e64 vcc_lo, v14, 0x260
	v_cndmask_b32_e32 v119, v15, v14, vcc_lo
	s_delay_alu instid0(VALU_DEP_1) | instskip(SKIP_1) | instid1(VALU_DEP_2)
	v_pk_add_f32 v[14:15], v[118:119], v[110:111] op_sel_hi:[1,0] neg_lo:[0,1] neg_hi:[0,1]
	v_pk_fma_f32 v[52:53], v[108:109], v[118:119], 1.0 op_sel_hi:[0,1,0] neg_lo:[1,0,0] neg_hi:[1,0,0]
	v_cmp_gt_f32_e32 vcc_lo, 0, v14
	s_delay_alu instid0(VALU_DEP_3) | instskip(SKIP_3) | instid1(VALU_DEP_4)
	v_cmp_gt_f32_e64 s0, 0, v15
	v_cmp_gt_f32_e64 s1, s34, v14
	;; [unrolled: 1-line block ×3, first 2 shown]
	v_cndmask_b32_e64 v118, 0, 0x42980000, vcc_lo
	v_cndmask_b32_e64 v119, 0, 0x42980000, s0
	s_delay_alu instid0(VALU_DEP_1)
	v_pk_fma_f32 v[52:53], v[52:53], v[118:119], v[126:127]
	v_pk_fma_f32 v[118:119], s[18:19], v[14:15], 1.0 op_sel_hi:[0,1,0] neg_lo:[1,0,0] neg_hi:[1,0,0]
	v_cndmask_b32_e64 v127, 0, 1.0, s3
	v_cndmask_b32_e64 v126, 0, 1.0, s1
	v_cmp_gt_f32_e64 s1, s31, v15
	v_cmp_gt_f32_e64 s3, s31, v14
	v_cndmask_b32_e64 v119, v119, 1.0, s0
	v_cndmask_b32_e64 v118, v118, 1.0, vcc_lo
	s_and_b32 s1, s30, s1
	s_and_b32 s3, s30, s3
	s_delay_alu instid0(VALU_DEP_1) | instskip(NEXT) | instid1(VALU_DEP_1)
	v_pk_mul_f32 v[118:119], v[126:127], v[118:119]
	v_pk_mul_f32 v[118:119], v[100:101], v[118:119] op_sel_hi:[0,1]
	s_delay_alu instid0(VALU_DEP_1) | instskip(NEXT) | instid1(VALU_DEP_2)
	v_cndmask_b32_e64 v119, v119, -|v119|, s33
	v_cndmask_b32_e64 v118, v118, -|v118|, s33
	s_delay_alu instid0(VALU_DEP_1) | instskip(SKIP_3) | instid1(VALU_DEP_3)
	v_pk_fma_f32 v[52:53], v[118:119], s[12:13], v[52:53] op_sel_hi:[1,0,1]
	v_pk_fma_f32 v[118:119], v[98:99], v[14:15], 1.0 op_sel_hi:[0,1,0] neg_lo:[1,0,0] neg_hi:[1,0,0]
	v_cndmask_b32_e64 v15, 0, 1.0, s1
	v_cndmask_b32_e64 v14, 0, 1.0, s3
	;; [unrolled: 1-line block ×3, first 2 shown]
	s_delay_alu instid0(VALU_DEP_4) | instskip(NEXT) | instid1(VALU_DEP_3)
	v_cndmask_b32_e64 v118, v118, 1.0, vcc_lo
	v_pk_mul_f32 v[14:15], s[16:17], v[14:15] op_sel_hi:[0,1]
	s_delay_alu instid0(VALU_DEP_1)
	v_pk_fma_f32 v[126:127], v[118:119], v[14:15], v[52:53]
	scratch_load_b32 v14, off, off offset:3552 ; 4-byte Folded Reload
	s_wait_loadcnt 0x0
	v_sub_f32_e32 v37, v14, v117
	scratch_load_b64 v[14:15], off, off offset:3556 ; 8-byte Folded Reload
	s_wait_loadcnt 0x0
	v_pk_add_f32 v[14:15], v[14:15], v[16:17] neg_lo:[0,1] neg_hi:[0,1]
	s_delay_alu instid0(VALU_DEP_1) | instskip(NEXT) | instid1(VALU_DEP_1)
	v_pk_mul_f32 v[14:15], v[14:15], v[14:15]
	v_fma_f32 v14, v37, v37, v14
	s_delay_alu instid0(VALU_DEP_1) | instskip(NEXT) | instid1(VALU_DEP_1)
	v_add_f32_e32 v14, v14, v15
	v_cmp_gt_f32_e32 vcc_lo, 0xf800000, v14
	v_mul_f32_e32 v15, 0x4f800000, v14
	s_delay_alu instid0(VALU_DEP_1) | instskip(NEXT) | instid1(VALU_DEP_1)
	v_cndmask_b32_e32 v14, v14, v15, vcc_lo
	v_sqrt_f32_e32 v15, v14
	v_nop
	s_delay_alu instid0(TRANS32_DEP_1) | instskip(NEXT) | instid1(VALU_DEP_1)
	v_add_nc_u32_e32 v37, -1, v15
	v_fma_f32 v52, -v37, v15, v14
	s_delay_alu instid0(VALU_DEP_1) | instskip(NEXT) | instid1(VALU_DEP_1)
	v_cmp_ge_f32_e64 s0, 0, v52
	v_dual_add_nc_u32 v52, 1, v15 :: v_dual_cndmask_b32 v37, v15, v37, s0
	s_delay_alu instid0(VALU_DEP_1) | instskip(NEXT) | instid1(VALU_DEP_1)
	v_fma_f32 v15, -v52, v15, v14
	v_cmp_lt_f32_e64 s0, 0, v15
	s_delay_alu instid0(VALU_DEP_1) | instskip(SKIP_2) | instid1(VALU_DEP_1)
	v_cndmask_b32_e64 v15, v37, v52, s0
	scratch_load_b64 v[52:53], off, off offset:3568 ; 8-byte Folded Reload
	v_mul_f32_e32 v37, 0x37800000, v15
	v_cndmask_b32_e32 v15, v15, v37, vcc_lo
	v_cmp_class_f32_e64 vcc_lo, v14, 0x260
	s_delay_alu instid0(VALU_DEP_2) | instskip(SKIP_3) | instid1(VALU_DEP_1)
	v_cndmask_b32_e32 v14, v15, v14, vcc_lo
	scratch_load_b32 v15, off, off offset:3564 ; 4-byte Folded Reload
	s_wait_loadcnt 0x1
	v_pk_add_f32 v[52:53], v[52:53], v[16:17] neg_lo:[0,1] neg_hi:[0,1]
	v_pk_mul_f32 v[52:53], v[52:53], v[52:53]
	s_wait_loadcnt 0x0
	v_sub_f32_e32 v15, v15, v117
	s_delay_alu instid0(VALU_DEP_1) | instskip(NEXT) | instid1(VALU_DEP_1)
	v_fma_f32 v15, v15, v15, v52
	v_add_f32_e32 v15, v15, v53
	s_delay_alu instid0(VALU_DEP_1) | instskip(SKIP_1) | instid1(VALU_DEP_1)
	v_cmp_gt_f32_e32 vcc_lo, 0xf800000, v15
	v_mul_f32_e32 v37, 0x4f800000, v15
	v_cndmask_b32_e32 v15, v15, v37, vcc_lo
	s_delay_alu instid0(VALU_DEP_1) | instskip(SKIP_1) | instid1(TRANS32_DEP_1)
	v_sqrt_f32_e32 v37, v15
	v_nop
	v_add_nc_u32_e32 v52, -1, v37
	s_delay_alu instid0(VALU_DEP_1) | instskip(NEXT) | instid1(VALU_DEP_1)
	v_fma_f32 v53, -v52, v37, v15
	v_cmp_ge_f32_e64 s0, 0, v53
	s_delay_alu instid0(VALU_DEP_1) | instskip(NEXT) | instid1(VALU_DEP_1)
	v_dual_add_nc_u32 v53, 1, v37 :: v_dual_cndmask_b32 v52, v37, v52, s0
	v_fma_f32 v37, -v53, v37, v15
	s_delay_alu instid0(VALU_DEP_1) | instskip(NEXT) | instid1(VALU_DEP_1)
	v_cmp_lt_f32_e64 s0, 0, v37
	v_cndmask_b32_e64 v37, v52, v53, s0
	s_delay_alu instid0(VALU_DEP_1) | instskip(NEXT) | instid1(VALU_DEP_1)
	v_mul_f32_e32 v52, 0x37800000, v37
	v_cndmask_b32_e32 v37, v37, v52, vcc_lo
	v_cmp_class_f32_e64 vcc_lo, v15, 0x260
	s_delay_alu instid0(VALU_DEP_2) | instskip(NEXT) | instid1(VALU_DEP_1)
	v_cndmask_b32_e32 v15, v37, v15, vcc_lo
	v_pk_add_f32 v[52:53], v[14:15], v[110:111] op_sel_hi:[1,0] neg_lo:[0,1] neg_hi:[0,1]
	v_pk_fma_f32 v[14:15], v[108:109], v[14:15], 1.0 op_sel_hi:[0,1,0] neg_lo:[1,0,0] neg_hi:[1,0,0]
	s_delay_alu instid0(VALU_DEP_2) | instskip(NEXT) | instid1(VALU_DEP_3)
	v_cmp_gt_f32_e32 vcc_lo, 0, v52
	v_cmp_gt_f32_e64 s0, 0, v53
	v_cmp_gt_f32_e64 s1, s34, v52
	;; [unrolled: 1-line block ×3, first 2 shown]
	v_cndmask_b32_e64 v118, 0, 0x42980000, vcc_lo
	s_delay_alu instid0(VALU_DEP_4) | instskip(NEXT) | instid1(VALU_DEP_1)
	v_cndmask_b32_e64 v119, 0, 0x42980000, s0
	v_pk_fma_f32 v[14:15], v[14:15], v[118:119], v[120:121]
	v_pk_fma_f32 v[118:119], s[18:19], v[52:53], 1.0 op_sel_hi:[0,1,0] neg_lo:[1,0,0] neg_hi:[1,0,0]
	v_cndmask_b32_e64 v121, 0, 1.0, s3
	v_cndmask_b32_e64 v120, 0, 1.0, s1
	v_cmp_gt_f32_e64 s1, s31, v53
	v_cmp_gt_f32_e64 s3, s31, v52
	v_cndmask_b32_e64 v119, v119, 1.0, s0
	v_cndmask_b32_e64 v118, v118, 1.0, vcc_lo
	s_and_b32 s1, s30, s1
	s_and_b32 s3, s30, s3
	s_delay_alu instid0(VALU_DEP_1) | instskip(NEXT) | instid1(VALU_DEP_1)
	v_pk_mul_f32 v[118:119], v[120:121], v[118:119]
	v_pk_mul_f32 v[118:119], v[100:101], v[118:119] op_sel_hi:[0,1]
	s_delay_alu instid0(VALU_DEP_1) | instskip(NEXT) | instid1(VALU_DEP_2)
	v_cndmask_b32_e64 v119, v119, -|v119|, s33
	v_cndmask_b32_e64 v118, v118, -|v118|, s33
	s_delay_alu instid0(VALU_DEP_1) | instskip(SKIP_3) | instid1(VALU_DEP_3)
	v_pk_fma_f32 v[14:15], v[118:119], s[12:13], v[14:15] op_sel_hi:[1,0,1]
	v_pk_fma_f32 v[118:119], v[98:99], v[52:53], 1.0 op_sel_hi:[0,1,0] neg_lo:[1,0,0] neg_hi:[1,0,0]
	v_cndmask_b32_e64 v53, 0, 1.0, s1
	v_cndmask_b32_e64 v52, 0, 1.0, s3
	;; [unrolled: 1-line block ×3, first 2 shown]
	s_delay_alu instid0(VALU_DEP_4) | instskip(NEXT) | instid1(VALU_DEP_3)
	v_cndmask_b32_e64 v118, v118, 1.0, vcc_lo
	v_pk_mul_f32 v[52:53], s[16:17], v[52:53] op_sel_hi:[0,1]
	s_delay_alu instid0(VALU_DEP_1)
	v_pk_fma_f32 v[120:121], v[118:119], v[52:53], v[14:15]
	scratch_load_b32 v14, off, off offset:3576 ; 4-byte Folded Reload
	s_wait_loadcnt 0x0
	v_sub_f32_e32 v37, v14, v117
	scratch_load_b64 v[14:15], off, off offset:3580 ; 8-byte Folded Reload
	s_wait_loadcnt 0x0
	v_pk_add_f32 v[14:15], v[14:15], v[16:17] neg_lo:[0,1] neg_hi:[0,1]
	s_delay_alu instid0(VALU_DEP_1) | instskip(NEXT) | instid1(VALU_DEP_1)
	v_pk_mul_f32 v[14:15], v[14:15], v[14:15]
	v_fma_f32 v14, v37, v37, v14
	s_delay_alu instid0(VALU_DEP_1) | instskip(NEXT) | instid1(VALU_DEP_1)
	v_add_f32_e32 v14, v14, v15
	v_cmp_gt_f32_e32 vcc_lo, 0xf800000, v14
	v_mul_f32_e32 v15, 0x4f800000, v14
	s_delay_alu instid0(VALU_DEP_1) | instskip(NEXT) | instid1(VALU_DEP_1)
	v_cndmask_b32_e32 v14, v14, v15, vcc_lo
	v_sqrt_f32_e32 v15, v14
	v_nop
	s_delay_alu instid0(TRANS32_DEP_1) | instskip(NEXT) | instid1(VALU_DEP_1)
	v_add_nc_u32_e32 v37, -1, v15
	v_fma_f32 v52, -v37, v15, v14
	s_delay_alu instid0(VALU_DEP_1) | instskip(NEXT) | instid1(VALU_DEP_1)
	v_cmp_ge_f32_e64 s0, 0, v52
	v_dual_add_nc_u32 v52, 1, v15 :: v_dual_cndmask_b32 v37, v15, v37, s0
	s_delay_alu instid0(VALU_DEP_1) | instskip(NEXT) | instid1(VALU_DEP_1)
	v_fma_f32 v15, -v52, v15, v14
	v_cmp_lt_f32_e64 s0, 0, v15
	s_delay_alu instid0(VALU_DEP_1) | instskip(NEXT) | instid1(VALU_DEP_1)
	v_cndmask_b32_e64 v15, v37, v52, s0
	v_mul_f32_e32 v37, 0x37800000, v15
	s_delay_alu instid0(VALU_DEP_1) | instskip(SKIP_1) | instid1(VALU_DEP_2)
	v_cndmask_b32_e32 v15, v15, v37, vcc_lo
	v_cmp_class_f32_e64 vcc_lo, v14, 0x260
	v_cndmask_b32_e32 v118, v15, v14, vcc_lo
	scratch_load_b32 v14, off, off offset:3588 ; 4-byte Folded Reload
	s_wait_loadcnt 0x0
	v_sub_f32_e32 v37, v14, v117
	scratch_load_b64 v[14:15], off, off offset:3592 ; 8-byte Folded Reload
	s_wait_loadcnt 0x0
	v_pk_add_f32 v[14:15], v[14:15], v[16:17] neg_lo:[0,1] neg_hi:[0,1]
	s_delay_alu instid0(VALU_DEP_1) | instskip(NEXT) | instid1(VALU_DEP_1)
	v_pk_mul_f32 v[14:15], v[14:15], v[14:15]
	v_fma_f32 v14, v37, v37, v14
	s_delay_alu instid0(VALU_DEP_1) | instskip(NEXT) | instid1(VALU_DEP_1)
	v_add_f32_e32 v14, v14, v15
	v_cmp_gt_f32_e32 vcc_lo, 0xf800000, v14
	v_mul_f32_e32 v15, 0x4f800000, v14
	s_delay_alu instid0(VALU_DEP_1) | instskip(NEXT) | instid1(VALU_DEP_1)
	v_cndmask_b32_e32 v14, v14, v15, vcc_lo
	v_sqrt_f32_e32 v15, v14
	v_nop
	s_delay_alu instid0(TRANS32_DEP_1) | instskip(NEXT) | instid1(VALU_DEP_1)
	v_add_nc_u32_e32 v37, -1, v15
	v_fma_f32 v52, -v37, v15, v14
	s_delay_alu instid0(VALU_DEP_1) | instskip(NEXT) | instid1(VALU_DEP_1)
	v_cmp_ge_f32_e64 s0, 0, v52
	v_dual_add_nc_u32 v52, 1, v15 :: v_dual_cndmask_b32 v37, v15, v37, s0
	s_delay_alu instid0(VALU_DEP_1) | instskip(NEXT) | instid1(VALU_DEP_1)
	v_fma_f32 v15, -v52, v15, v14
	v_cmp_lt_f32_e64 s0, 0, v15
	s_delay_alu instid0(VALU_DEP_1) | instskip(NEXT) | instid1(VALU_DEP_1)
	v_cndmask_b32_e64 v15, v37, v52, s0
	v_mul_f32_e32 v37, 0x37800000, v15
	s_delay_alu instid0(VALU_DEP_1) | instskip(SKIP_1) | instid1(VALU_DEP_2)
	v_cndmask_b32_e32 v15, v15, v37, vcc_lo
	v_cmp_class_f32_e64 vcc_lo, v14, 0x260
	v_cndmask_b32_e32 v119, v15, v14, vcc_lo
	s_delay_alu instid0(VALU_DEP_1) | instskip(SKIP_1) | instid1(VALU_DEP_2)
	v_pk_add_f32 v[14:15], v[118:119], v[110:111] op_sel_hi:[1,0] neg_lo:[0,1] neg_hi:[0,1]
	v_pk_fma_f32 v[52:53], v[108:109], v[118:119], 1.0 op_sel_hi:[0,1,0] neg_lo:[1,0,0] neg_hi:[1,0,0]
	v_cmp_gt_f32_e32 vcc_lo, 0, v14
	s_delay_alu instid0(VALU_DEP_3) | instskip(SKIP_3) | instid1(VALU_DEP_4)
	v_cmp_gt_f32_e64 s0, 0, v15
	v_cmp_gt_f32_e64 s1, s34, v14
	;; [unrolled: 1-line block ×3, first 2 shown]
	v_cndmask_b32_e64 v118, 0, 0x42980000, vcc_lo
	v_cndmask_b32_e64 v119, 0, 0x42980000, s0
	s_delay_alu instid0(VALU_DEP_1)
	v_pk_fma_f32 v[52:53], v[52:53], v[118:119], v[122:123]
	v_pk_fma_f32 v[118:119], s[18:19], v[14:15], 1.0 op_sel_hi:[0,1,0] neg_lo:[1,0,0] neg_hi:[1,0,0]
	v_cndmask_b32_e64 v123, 0, 1.0, s3
	v_cndmask_b32_e64 v122, 0, 1.0, s1
	v_cmp_gt_f32_e64 s1, s31, v15
	v_cmp_gt_f32_e64 s3, s31, v14
	v_cndmask_b32_e64 v119, v119, 1.0, s0
	v_cndmask_b32_e64 v118, v118, 1.0, vcc_lo
	s_and_b32 s1, s30, s1
	s_and_b32 s3, s30, s3
	s_delay_alu instid0(VALU_DEP_1) | instskip(NEXT) | instid1(VALU_DEP_1)
	v_pk_mul_f32 v[118:119], v[122:123], v[118:119]
	v_pk_mul_f32 v[118:119], v[100:101], v[118:119] op_sel_hi:[0,1]
	s_delay_alu instid0(VALU_DEP_1) | instskip(NEXT) | instid1(VALU_DEP_2)
	v_cndmask_b32_e64 v119, v119, -|v119|, s33
	v_cndmask_b32_e64 v118, v118, -|v118|, s33
	s_delay_alu instid0(VALU_DEP_1) | instskip(SKIP_3) | instid1(VALU_DEP_3)
	v_pk_fma_f32 v[52:53], v[118:119], s[12:13], v[52:53] op_sel_hi:[1,0,1]
	v_pk_fma_f32 v[118:119], v[98:99], v[14:15], 1.0 op_sel_hi:[0,1,0] neg_lo:[1,0,0] neg_hi:[1,0,0]
	v_cndmask_b32_e64 v15, 0, 1.0, s1
	v_cndmask_b32_e64 v14, 0, 1.0, s3
	;; [unrolled: 1-line block ×3, first 2 shown]
	s_delay_alu instid0(VALU_DEP_4) | instskip(NEXT) | instid1(VALU_DEP_3)
	v_cndmask_b32_e64 v118, v118, 1.0, vcc_lo
	v_pk_mul_f32 v[14:15], s[16:17], v[14:15] op_sel_hi:[0,1]
	s_delay_alu instid0(VALU_DEP_1)
	v_pk_fma_f32 v[122:123], v[118:119], v[14:15], v[52:53]
	scratch_load_b32 v14, off, off offset:3600 ; 4-byte Folded Reload
	s_wait_loadcnt 0x0
	v_sub_f32_e32 v37, v14, v117
	scratch_load_b64 v[14:15], off, off offset:3604 ; 8-byte Folded Reload
	s_wait_loadcnt 0x0
	v_pk_add_f32 v[14:15], v[14:15], v[16:17] neg_lo:[0,1] neg_hi:[0,1]
	s_delay_alu instid0(VALU_DEP_1) | instskip(NEXT) | instid1(VALU_DEP_1)
	v_pk_mul_f32 v[14:15], v[14:15], v[14:15]
	v_fma_f32 v14, v37, v37, v14
	s_delay_alu instid0(VALU_DEP_1) | instskip(NEXT) | instid1(VALU_DEP_1)
	v_add_f32_e32 v14, v14, v15
	v_cmp_gt_f32_e32 vcc_lo, 0xf800000, v14
	v_mul_f32_e32 v15, 0x4f800000, v14
	s_delay_alu instid0(VALU_DEP_1) | instskip(NEXT) | instid1(VALU_DEP_1)
	v_cndmask_b32_e32 v14, v14, v15, vcc_lo
	v_sqrt_f32_e32 v15, v14
	v_nop
	s_delay_alu instid0(TRANS32_DEP_1) | instskip(NEXT) | instid1(VALU_DEP_1)
	v_add_nc_u32_e32 v37, -1, v15
	v_fma_f32 v52, -v37, v15, v14
	s_delay_alu instid0(VALU_DEP_1) | instskip(NEXT) | instid1(VALU_DEP_1)
	v_cmp_ge_f32_e64 s0, 0, v52
	v_dual_add_nc_u32 v52, 1, v15 :: v_dual_cndmask_b32 v37, v15, v37, s0
	s_delay_alu instid0(VALU_DEP_1) | instskip(NEXT) | instid1(VALU_DEP_1)
	v_fma_f32 v15, -v52, v15, v14
	v_cmp_lt_f32_e64 s0, 0, v15
	s_delay_alu instid0(VALU_DEP_1) | instskip(SKIP_2) | instid1(VALU_DEP_1)
	v_cndmask_b32_e64 v15, v37, v52, s0
	scratch_load_b64 v[52:53], off, off offset:3616 ; 8-byte Folded Reload
	v_mul_f32_e32 v37, 0x37800000, v15
	v_cndmask_b32_e32 v15, v15, v37, vcc_lo
	v_cmp_class_f32_e64 vcc_lo, v14, 0x260
	s_delay_alu instid0(VALU_DEP_2) | instskip(SKIP_3) | instid1(VALU_DEP_1)
	v_cndmask_b32_e32 v14, v15, v14, vcc_lo
	scratch_load_b32 v15, off, off offset:3612 ; 4-byte Folded Reload
	s_wait_loadcnt 0x1
	v_pk_add_f32 v[52:53], v[52:53], v[16:17] neg_lo:[0,1] neg_hi:[0,1]
	v_pk_mul_f32 v[52:53], v[52:53], v[52:53]
	s_wait_loadcnt 0x0
	v_sub_f32_e32 v15, v15, v117
	s_delay_alu instid0(VALU_DEP_1) | instskip(NEXT) | instid1(VALU_DEP_1)
	v_fma_f32 v15, v15, v15, v52
	v_add_f32_e32 v15, v15, v53
	s_delay_alu instid0(VALU_DEP_1) | instskip(SKIP_1) | instid1(VALU_DEP_1)
	v_cmp_gt_f32_e32 vcc_lo, 0xf800000, v15
	v_mul_f32_e32 v37, 0x4f800000, v15
	v_cndmask_b32_e32 v15, v15, v37, vcc_lo
	s_delay_alu instid0(VALU_DEP_1) | instskip(SKIP_1) | instid1(TRANS32_DEP_1)
	v_sqrt_f32_e32 v37, v15
	v_nop
	v_add_nc_u32_e32 v52, -1, v37
	s_delay_alu instid0(VALU_DEP_1) | instskip(NEXT) | instid1(VALU_DEP_1)
	v_fma_f32 v53, -v52, v37, v15
	v_cmp_ge_f32_e64 s0, 0, v53
	s_delay_alu instid0(VALU_DEP_1) | instskip(NEXT) | instid1(VALU_DEP_1)
	v_dual_add_nc_u32 v53, 1, v37 :: v_dual_cndmask_b32 v52, v37, v52, s0
	v_fma_f32 v37, -v53, v37, v15
	s_delay_alu instid0(VALU_DEP_1) | instskip(NEXT) | instid1(VALU_DEP_1)
	v_cmp_lt_f32_e64 s0, 0, v37
	v_cndmask_b32_e64 v37, v52, v53, s0
	s_delay_alu instid0(VALU_DEP_1) | instskip(NEXT) | instid1(VALU_DEP_1)
	v_mul_f32_e32 v52, 0x37800000, v37
	v_cndmask_b32_e32 v37, v37, v52, vcc_lo
	v_cmp_class_f32_e64 vcc_lo, v15, 0x260
	s_delay_alu instid0(VALU_DEP_2) | instskip(NEXT) | instid1(VALU_DEP_1)
	v_cndmask_b32_e32 v15, v37, v15, vcc_lo
	v_pk_add_f32 v[52:53], v[14:15], v[110:111] op_sel_hi:[1,0] neg_lo:[0,1] neg_hi:[0,1]
	v_pk_fma_f32 v[14:15], v[108:109], v[14:15], 1.0 op_sel_hi:[0,1,0] neg_lo:[1,0,0] neg_hi:[1,0,0]
	s_delay_alu instid0(VALU_DEP_2) | instskip(NEXT) | instid1(VALU_DEP_3)
	v_cmp_gt_f32_e32 vcc_lo, 0, v52
	v_cmp_gt_f32_e64 s0, 0, v53
	v_cmp_gt_f32_e64 s1, s34, v52
	;; [unrolled: 1-line block ×3, first 2 shown]
	v_cndmask_b32_e64 v118, 0, 0x42980000, vcc_lo
	s_delay_alu instid0(VALU_DEP_4) | instskip(NEXT) | instid1(VALU_DEP_1)
	v_cndmask_b32_e64 v119, 0, 0x42980000, s0
	v_pk_fma_f32 v[14:15], v[14:15], v[118:119], v[112:113]
	v_pk_fma_f32 v[112:113], s[18:19], v[52:53], 1.0 op_sel_hi:[0,1,0] neg_lo:[1,0,0] neg_hi:[1,0,0]
	v_cndmask_b32_e64 v119, 0, 1.0, s3
	v_cndmask_b32_e64 v118, 0, 1.0, s1
	v_cmp_gt_f32_e64 s1, s31, v53
	v_cmp_gt_f32_e64 s3, s31, v52
	v_cndmask_b32_e64 v113, v113, 1.0, s0
	v_cndmask_b32_e64 v112, v112, 1.0, vcc_lo
	s_and_b32 s1, s30, s1
	s_and_b32 s3, s30, s3
	s_delay_alu instid0(VALU_DEP_1) | instskip(NEXT) | instid1(VALU_DEP_1)
	v_pk_mul_f32 v[112:113], v[118:119], v[112:113]
	v_pk_mul_f32 v[112:113], v[100:101], v[112:113] op_sel_hi:[0,1]
	s_delay_alu instid0(VALU_DEP_1) | instskip(NEXT) | instid1(VALU_DEP_2)
	v_cndmask_b32_e64 v113, v113, -|v113|, s33
	v_cndmask_b32_e64 v112, v112, -|v112|, s33
	s_delay_alu instid0(VALU_DEP_1) | instskip(SKIP_3) | instid1(VALU_DEP_3)
	v_pk_fma_f32 v[14:15], v[112:113], s[12:13], v[14:15] op_sel_hi:[1,0,1]
	v_pk_fma_f32 v[112:113], v[98:99], v[52:53], 1.0 op_sel_hi:[0,1,0] neg_lo:[1,0,0] neg_hi:[1,0,0]
	v_cndmask_b32_e64 v53, 0, 1.0, s1
	v_cndmask_b32_e64 v52, 0, 1.0, s3
	;; [unrolled: 1-line block ×3, first 2 shown]
	s_delay_alu instid0(VALU_DEP_4) | instskip(NEXT) | instid1(VALU_DEP_3)
	v_cndmask_b32_e64 v112, v112, 1.0, vcc_lo
	v_pk_mul_f32 v[52:53], s[16:17], v[52:53] op_sel_hi:[0,1]
	s_delay_alu instid0(VALU_DEP_1)
	v_pk_fma_f32 v[112:113], v[112:113], v[52:53], v[14:15]
	scratch_load_b32 v14, off, off offset:3624 ; 4-byte Folded Reload
	s_wait_loadcnt 0x0
	v_sub_f32_e32 v37, v14, v117
	scratch_load_b64 v[14:15], off, off offset:3628 ; 8-byte Folded Reload
	s_wait_loadcnt 0x0
	v_pk_add_f32 v[14:15], v[14:15], v[16:17] neg_lo:[0,1] neg_hi:[0,1]
	s_delay_alu instid0(VALU_DEP_1) | instskip(NEXT) | instid1(VALU_DEP_1)
	v_pk_mul_f32 v[14:15], v[14:15], v[14:15]
	v_fma_f32 v14, v37, v37, v14
	s_delay_alu instid0(VALU_DEP_1) | instskip(NEXT) | instid1(VALU_DEP_1)
	v_add_f32_e32 v14, v14, v15
	v_cmp_gt_f32_e32 vcc_lo, 0xf800000, v14
	v_mul_f32_e32 v15, 0x4f800000, v14
	s_delay_alu instid0(VALU_DEP_1) | instskip(NEXT) | instid1(VALU_DEP_1)
	v_cndmask_b32_e32 v14, v14, v15, vcc_lo
	v_sqrt_f32_e32 v15, v14
	v_nop
	s_delay_alu instid0(TRANS32_DEP_1) | instskip(NEXT) | instid1(VALU_DEP_1)
	v_add_nc_u32_e32 v37, -1, v15
	v_fma_f32 v52, -v37, v15, v14
	s_delay_alu instid0(VALU_DEP_1) | instskip(NEXT) | instid1(VALU_DEP_1)
	v_cmp_ge_f32_e64 s0, 0, v52
	v_dual_add_nc_u32 v52, 1, v15 :: v_dual_cndmask_b32 v37, v15, v37, s0
	s_delay_alu instid0(VALU_DEP_1) | instskip(NEXT) | instid1(VALU_DEP_1)
	v_fma_f32 v15, -v52, v15, v14
	v_cmp_lt_f32_e64 s0, 0, v15
	s_delay_alu instid0(VALU_DEP_1) | instskip(NEXT) | instid1(VALU_DEP_1)
	v_cndmask_b32_e64 v15, v37, v52, s0
	v_mul_f32_e32 v37, 0x37800000, v15
	s_delay_alu instid0(VALU_DEP_1) | instskip(SKIP_1) | instid1(VALU_DEP_2)
	v_cndmask_b32_e32 v15, v15, v37, vcc_lo
	v_cmp_class_f32_e64 vcc_lo, v14, 0x260
	v_cndmask_b32_e32 v118, v15, v14, vcc_lo
	scratch_load_b32 v14, off, off offset:3636 ; 4-byte Folded Reload
	s_wait_loadcnt 0x0
	v_sub_f32_e32 v37, v14, v117
	scratch_load_b64 v[14:15], off, off offset:3640 ; 8-byte Folded Reload
	s_wait_loadcnt 0x0
	v_pk_add_f32 v[14:15], v[14:15], v[16:17] neg_lo:[0,1] neg_hi:[0,1]
	s_delay_alu instid0(VALU_DEP_1) | instskip(NEXT) | instid1(VALU_DEP_1)
	v_pk_mul_f32 v[14:15], v[14:15], v[14:15]
	v_fma_f32 v14, v37, v37, v14
	s_delay_alu instid0(VALU_DEP_1) | instskip(NEXT) | instid1(VALU_DEP_1)
	v_add_f32_e32 v14, v14, v15
	v_cmp_gt_f32_e32 vcc_lo, 0xf800000, v14
	v_mul_f32_e32 v15, 0x4f800000, v14
	s_delay_alu instid0(VALU_DEP_1) | instskip(NEXT) | instid1(VALU_DEP_1)
	v_cndmask_b32_e32 v14, v14, v15, vcc_lo
	v_sqrt_f32_e32 v15, v14
	v_nop
	s_delay_alu instid0(TRANS32_DEP_1) | instskip(NEXT) | instid1(VALU_DEP_1)
	v_add_nc_u32_e32 v37, -1, v15
	v_fma_f32 v52, -v37, v15, v14
	s_delay_alu instid0(VALU_DEP_1) | instskip(NEXT) | instid1(VALU_DEP_1)
	v_cmp_ge_f32_e64 s0, 0, v52
	v_dual_add_nc_u32 v52, 1, v15 :: v_dual_cndmask_b32 v37, v15, v37, s0
	s_delay_alu instid0(VALU_DEP_1) | instskip(NEXT) | instid1(VALU_DEP_1)
	v_fma_f32 v15, -v52, v15, v14
	v_cmp_lt_f32_e64 s0, 0, v15
	s_delay_alu instid0(VALU_DEP_1) | instskip(NEXT) | instid1(VALU_DEP_1)
	v_cndmask_b32_e64 v15, v37, v52, s0
	v_mul_f32_e32 v37, 0x37800000, v15
	s_delay_alu instid0(VALU_DEP_1) | instskip(SKIP_1) | instid1(VALU_DEP_2)
	v_cndmask_b32_e32 v15, v15, v37, vcc_lo
	v_cmp_class_f32_e64 vcc_lo, v14, 0x260
	v_cndmask_b32_e32 v119, v15, v14, vcc_lo
	s_delay_alu instid0(VALU_DEP_1) | instskip(SKIP_1) | instid1(VALU_DEP_2)
	v_pk_add_f32 v[14:15], v[118:119], v[110:111] op_sel_hi:[1,0] neg_lo:[0,1] neg_hi:[0,1]
	v_pk_fma_f32 v[52:53], v[108:109], v[118:119], 1.0 op_sel_hi:[0,1,0] neg_lo:[1,0,0] neg_hi:[1,0,0]
	v_cmp_gt_f32_e32 vcc_lo, 0, v14
	s_delay_alu instid0(VALU_DEP_3) | instskip(SKIP_3) | instid1(VALU_DEP_4)
	v_cmp_gt_f32_e64 s0, 0, v15
	v_cmp_gt_f32_e64 s1, s34, v14
	;; [unrolled: 1-line block ×3, first 2 shown]
	v_cndmask_b32_e64 v118, 0, 0x42980000, vcc_lo
	v_cndmask_b32_e64 v119, 0, 0x42980000, s0
	s_delay_alu instid0(VALU_DEP_1)
	v_pk_fma_f32 v[52:53], v[52:53], v[118:119], v[114:115]
	v_pk_fma_f32 v[114:115], s[18:19], v[14:15], 1.0 op_sel_hi:[0,1,0] neg_lo:[1,0,0] neg_hi:[1,0,0]
	v_cndmask_b32_e64 v119, 0, 1.0, s3
	v_cndmask_b32_e64 v118, 0, 1.0, s1
	v_cmp_gt_f32_e64 s1, s31, v15
	v_cmp_gt_f32_e64 s3, s31, v14
	v_cndmask_b32_e64 v115, v115, 1.0, s0
	v_cndmask_b32_e64 v114, v114, 1.0, vcc_lo
	s_and_b32 s1, s30, s1
	s_and_b32 s3, s30, s3
	s_delay_alu instid0(VALU_DEP_1) | instskip(NEXT) | instid1(VALU_DEP_1)
	v_pk_mul_f32 v[114:115], v[118:119], v[114:115]
	v_pk_mul_f32 v[114:115], v[100:101], v[114:115] op_sel_hi:[0,1]
	s_delay_alu instid0(VALU_DEP_1) | instskip(NEXT) | instid1(VALU_DEP_2)
	v_cndmask_b32_e64 v115, v115, -|v115|, s33
	v_cndmask_b32_e64 v114, v114, -|v114|, s33
	s_delay_alu instid0(VALU_DEP_1) | instskip(SKIP_3) | instid1(VALU_DEP_3)
	v_pk_fma_f32 v[52:53], v[114:115], s[12:13], v[52:53] op_sel_hi:[1,0,1]
	v_pk_fma_f32 v[114:115], v[98:99], v[14:15], 1.0 op_sel_hi:[0,1,0] neg_lo:[1,0,0] neg_hi:[1,0,0]
	v_cndmask_b32_e64 v15, 0, 1.0, s1
	v_cndmask_b32_e64 v14, 0, 1.0, s3
	;; [unrolled: 1-line block ×3, first 2 shown]
	s_delay_alu instid0(VALU_DEP_4) | instskip(NEXT) | instid1(VALU_DEP_3)
	v_cndmask_b32_e64 v114, v114, 1.0, vcc_lo
	v_pk_mul_f32 v[14:15], s[16:17], v[14:15] op_sel_hi:[0,1]
	s_delay_alu instid0(VALU_DEP_1)
	v_pk_fma_f32 v[114:115], v[114:115], v[14:15], v[52:53]
	scratch_load_b32 v14, off, off offset:3648 ; 4-byte Folded Reload
	s_wait_loadcnt 0x0
	v_sub_f32_e32 v37, v14, v117
	scratch_load_b64 v[14:15], off, off offset:3652 ; 8-byte Folded Reload
	s_wait_loadcnt 0x0
	v_pk_add_f32 v[14:15], v[14:15], v[16:17] neg_lo:[0,1] neg_hi:[0,1]
	s_delay_alu instid0(VALU_DEP_1) | instskip(NEXT) | instid1(VALU_DEP_1)
	v_pk_mul_f32 v[14:15], v[14:15], v[14:15]
	v_fma_f32 v14, v37, v37, v14
	s_delay_alu instid0(VALU_DEP_1) | instskip(NEXT) | instid1(VALU_DEP_1)
	v_add_f32_e32 v14, v14, v15
	v_cmp_gt_f32_e32 vcc_lo, 0xf800000, v14
	v_mul_f32_e32 v15, 0x4f800000, v14
	s_delay_alu instid0(VALU_DEP_1) | instskip(NEXT) | instid1(VALU_DEP_1)
	v_cndmask_b32_e32 v14, v14, v15, vcc_lo
	v_sqrt_f32_e32 v15, v14
	v_nop
	s_delay_alu instid0(TRANS32_DEP_1) | instskip(NEXT) | instid1(VALU_DEP_1)
	v_add_nc_u32_e32 v37, -1, v15
	v_fma_f32 v52, -v37, v15, v14
	s_delay_alu instid0(VALU_DEP_1) | instskip(NEXT) | instid1(VALU_DEP_1)
	v_cmp_ge_f32_e64 s0, 0, v52
	v_dual_add_nc_u32 v52, 1, v15 :: v_dual_cndmask_b32 v37, v15, v37, s0
	s_delay_alu instid0(VALU_DEP_1) | instskip(NEXT) | instid1(VALU_DEP_1)
	v_fma_f32 v15, -v52, v15, v14
	v_cmp_lt_f32_e64 s0, 0, v15
	s_delay_alu instid0(VALU_DEP_1) | instskip(SKIP_2) | instid1(VALU_DEP_1)
	v_cndmask_b32_e64 v15, v37, v52, s0
	scratch_load_b64 v[52:53], off, off offset:3664 ; 8-byte Folded Reload
	v_mul_f32_e32 v37, 0x37800000, v15
	v_cndmask_b32_e32 v15, v15, v37, vcc_lo
	v_cmp_class_f32_e64 vcc_lo, v14, 0x260
	s_delay_alu instid0(VALU_DEP_2) | instskip(SKIP_3) | instid1(VALU_DEP_1)
	v_cndmask_b32_e32 v14, v15, v14, vcc_lo
	scratch_load_b32 v15, off, off offset:3660 ; 4-byte Folded Reload
	s_wait_loadcnt 0x1
	v_pk_add_f32 v[52:53], v[52:53], v[16:17] neg_lo:[0,1] neg_hi:[0,1]
	v_pk_mul_f32 v[52:53], v[52:53], v[52:53]
	s_wait_loadcnt 0x0
	v_sub_f32_e32 v15, v15, v117
	s_delay_alu instid0(VALU_DEP_1) | instskip(NEXT) | instid1(VALU_DEP_1)
	v_fma_f32 v15, v15, v15, v52
	v_add_f32_e32 v15, v15, v53
	s_delay_alu instid0(VALU_DEP_1) | instskip(SKIP_1) | instid1(VALU_DEP_1)
	v_cmp_gt_f32_e32 vcc_lo, 0xf800000, v15
	v_mul_f32_e32 v37, 0x4f800000, v15
	v_cndmask_b32_e32 v15, v15, v37, vcc_lo
	s_delay_alu instid0(VALU_DEP_1) | instskip(SKIP_1) | instid1(TRANS32_DEP_1)
	v_sqrt_f32_e32 v37, v15
	v_nop
	v_add_nc_u32_e32 v52, -1, v37
	s_delay_alu instid0(VALU_DEP_1) | instskip(NEXT) | instid1(VALU_DEP_1)
	v_fma_f32 v53, -v52, v37, v15
	v_cmp_ge_f32_e64 s0, 0, v53
	s_delay_alu instid0(VALU_DEP_1) | instskip(NEXT) | instid1(VALU_DEP_1)
	v_dual_add_nc_u32 v53, 1, v37 :: v_dual_cndmask_b32 v52, v37, v52, s0
	v_fma_f32 v37, -v53, v37, v15
	s_delay_alu instid0(VALU_DEP_1) | instskip(NEXT) | instid1(VALU_DEP_1)
	v_cmp_lt_f32_e64 s0, 0, v37
	v_cndmask_b32_e64 v37, v52, v53, s0
	s_delay_alu instid0(VALU_DEP_1) | instskip(NEXT) | instid1(VALU_DEP_1)
	v_mul_f32_e32 v52, 0x37800000, v37
	v_cndmask_b32_e32 v37, v37, v52, vcc_lo
	v_cmp_class_f32_e64 vcc_lo, v15, 0x260
	s_delay_alu instid0(VALU_DEP_2) | instskip(NEXT) | instid1(VALU_DEP_1)
	v_cndmask_b32_e32 v15, v37, v15, vcc_lo
	v_pk_add_f32 v[52:53], v[14:15], v[110:111] op_sel_hi:[1,0] neg_lo:[0,1] neg_hi:[0,1]
	v_pk_fma_f32 v[14:15], v[108:109], v[14:15], 1.0 op_sel_hi:[0,1,0] neg_lo:[1,0,0] neg_hi:[1,0,0]
	s_delay_alu instid0(VALU_DEP_2) | instskip(NEXT) | instid1(VALU_DEP_3)
	v_cmp_gt_f32_e32 vcc_lo, 0, v52
	v_cmp_gt_f32_e64 s0, 0, v53
	v_cmp_gt_f32_e64 s1, s34, v52
	;; [unrolled: 1-line block ×3, first 2 shown]
	v_cndmask_b32_e64 v118, 0, 0x42980000, vcc_lo
	s_delay_alu instid0(VALU_DEP_4) | instskip(NEXT) | instid1(VALU_DEP_1)
	v_cndmask_b32_e64 v119, 0, 0x42980000, s0
	v_pk_fma_f32 v[14:15], v[14:15], v[118:119], v[92:93]
	v_pk_fma_f32 v[92:93], s[18:19], v[52:53], 1.0 op_sel_hi:[0,1,0] neg_lo:[1,0,0] neg_hi:[1,0,0]
	v_cndmask_b32_e64 v119, 0, 1.0, s3
	v_cndmask_b32_e64 v118, 0, 1.0, s1
	v_cmp_gt_f32_e64 s1, s31, v53
	v_cmp_gt_f32_e64 s3, s31, v52
	v_cndmask_b32_e64 v93, v93, 1.0, s0
	v_cndmask_b32_e64 v92, v92, 1.0, vcc_lo
	s_and_b32 s1, s30, s1
	s_and_b32 s3, s30, s3
	s_delay_alu instid0(VALU_DEP_1) | instskip(NEXT) | instid1(VALU_DEP_1)
	v_pk_mul_f32 v[92:93], v[118:119], v[92:93]
	v_pk_mul_f32 v[92:93], v[100:101], v[92:93] op_sel_hi:[0,1]
	s_delay_alu instid0(VALU_DEP_1) | instskip(NEXT) | instid1(VALU_DEP_2)
	v_cndmask_b32_e64 v93, v93, -|v93|, s33
	v_cndmask_b32_e64 v92, v92, -|v92|, s33
	s_delay_alu instid0(VALU_DEP_1) | instskip(SKIP_3) | instid1(VALU_DEP_3)
	v_pk_fma_f32 v[14:15], v[92:93], s[12:13], v[14:15] op_sel_hi:[1,0,1]
	v_pk_fma_f32 v[92:93], v[98:99], v[52:53], 1.0 op_sel_hi:[0,1,0] neg_lo:[1,0,0] neg_hi:[1,0,0]
	v_cndmask_b32_e64 v53, 0, 1.0, s1
	v_cndmask_b32_e64 v52, 0, 1.0, s3
	;; [unrolled: 1-line block ×3, first 2 shown]
	s_delay_alu instid0(VALU_DEP_4) | instskip(NEXT) | instid1(VALU_DEP_3)
	v_cndmask_b32_e64 v92, v92, 1.0, vcc_lo
	v_pk_mul_f32 v[52:53], s[16:17], v[52:53] op_sel_hi:[0,1]
	s_delay_alu instid0(VALU_DEP_1)
	v_pk_fma_f32 v[92:93], v[92:93], v[52:53], v[14:15]
	scratch_load_b32 v14, off, off offset:3672 ; 4-byte Folded Reload
	s_wait_loadcnt 0x0
	v_sub_f32_e32 v37, v14, v117
	scratch_load_b64 v[14:15], off, off offset:3676 ; 8-byte Folded Reload
	s_wait_loadcnt 0x0
	v_pk_add_f32 v[14:15], v[14:15], v[16:17] neg_lo:[0,1] neg_hi:[0,1]
	s_delay_alu instid0(VALU_DEP_1) | instskip(NEXT) | instid1(VALU_DEP_1)
	v_pk_mul_f32 v[14:15], v[14:15], v[14:15]
	v_fma_f32 v14, v37, v37, v14
	s_delay_alu instid0(VALU_DEP_1) | instskip(NEXT) | instid1(VALU_DEP_1)
	v_add_f32_e32 v14, v14, v15
	v_cmp_gt_f32_e32 vcc_lo, 0xf800000, v14
	v_mul_f32_e32 v15, 0x4f800000, v14
	s_delay_alu instid0(VALU_DEP_1) | instskip(NEXT) | instid1(VALU_DEP_1)
	v_cndmask_b32_e32 v14, v14, v15, vcc_lo
	v_sqrt_f32_e32 v15, v14
	v_nop
	s_delay_alu instid0(TRANS32_DEP_1) | instskip(NEXT) | instid1(VALU_DEP_1)
	v_add_nc_u32_e32 v37, -1, v15
	v_fma_f32 v52, -v37, v15, v14
	s_delay_alu instid0(VALU_DEP_1) | instskip(NEXT) | instid1(VALU_DEP_1)
	v_cmp_ge_f32_e64 s0, 0, v52
	v_dual_add_nc_u32 v52, 1, v15 :: v_dual_cndmask_b32 v37, v15, v37, s0
	s_delay_alu instid0(VALU_DEP_1) | instskip(NEXT) | instid1(VALU_DEP_1)
	v_fma_f32 v15, -v52, v15, v14
	v_cmp_lt_f32_e64 s0, 0, v15
	s_delay_alu instid0(VALU_DEP_1) | instskip(NEXT) | instid1(VALU_DEP_1)
	v_cndmask_b32_e64 v15, v37, v52, s0
	v_mul_f32_e32 v37, 0x37800000, v15
	s_delay_alu instid0(VALU_DEP_1) | instskip(SKIP_1) | instid1(VALU_DEP_2)
	v_cndmask_b32_e32 v15, v15, v37, vcc_lo
	v_cmp_class_f32_e64 vcc_lo, v14, 0x260
	v_cndmask_b32_e32 v116, v15, v14, vcc_lo
	scratch_load_b32 v14, off, off offset:3684 ; 4-byte Folded Reload
	s_wait_loadcnt 0x0
	v_sub_f32_e32 v37, v14, v117
	scratch_load_b64 v[14:15], off, off offset:3688 ; 8-byte Folded Reload
	s_wait_loadcnt 0x0
	v_pk_add_f32 v[14:15], v[14:15], v[16:17] neg_lo:[0,1] neg_hi:[0,1]
	s_delay_alu instid0(VALU_DEP_1) | instskip(NEXT) | instid1(VALU_DEP_1)
	v_pk_mul_f32 v[14:15], v[14:15], v[14:15]
	v_fma_f32 v14, v37, v37, v14
	s_delay_alu instid0(VALU_DEP_1) | instskip(NEXT) | instid1(VALU_DEP_1)
	v_add_f32_e32 v14, v14, v15
	v_cmp_gt_f32_e32 vcc_lo, 0xf800000, v14
	v_mul_f32_e32 v15, 0x4f800000, v14
	s_delay_alu instid0(VALU_DEP_1) | instskip(NEXT) | instid1(VALU_DEP_1)
	v_cndmask_b32_e32 v14, v14, v15, vcc_lo
	v_sqrt_f32_e32 v15, v14
	v_nop
	s_delay_alu instid0(TRANS32_DEP_1) | instskip(NEXT) | instid1(VALU_DEP_1)
	v_add_nc_u32_e32 v16, -1, v15
	v_fma_f32 v17, -v16, v15, v14
	s_delay_alu instid0(VALU_DEP_1) | instskip(NEXT) | instid1(VALU_DEP_1)
	v_cmp_ge_f32_e64 s0, 0, v17
	v_dual_add_nc_u32 v17, 1, v15 :: v_dual_cndmask_b32 v16, v15, v16, s0
	s_delay_alu instid0(VALU_DEP_1) | instskip(NEXT) | instid1(VALU_DEP_1)
	v_fma_f32 v15, -v17, v15, v14
	v_cmp_lt_f32_e64 s0, 0, v15
	s_delay_alu instid0(VALU_DEP_1) | instskip(NEXT) | instid1(VALU_DEP_1)
	v_cndmask_b32_e64 v15, v16, v17, s0
	v_mul_f32_e32 v16, 0x37800000, v15
	s_delay_alu instid0(VALU_DEP_1) | instskip(SKIP_1) | instid1(VALU_DEP_2)
	v_cndmask_b32_e32 v15, v15, v16, vcc_lo
	v_cmp_class_f32_e64 vcc_lo, v14, 0x260
	v_cndmask_b32_e32 v117, v15, v14, vcc_lo
	s_delay_alu instid0(VALU_DEP_1) | instskip(SKIP_1) | instid1(VALU_DEP_2)
	v_pk_add_f32 v[16:17], v[116:117], v[110:111] op_sel_hi:[1,0] neg_lo:[0,1] neg_hi:[0,1]
	v_pk_fma_f32 v[14:15], v[108:109], v[116:117], 1.0 op_sel_hi:[0,1,0] neg_lo:[1,0,0] neg_hi:[1,0,0]
	v_cmp_gt_f32_e32 vcc_lo, 0, v16
	s_delay_alu instid0(VALU_DEP_3) | instskip(SKIP_3) | instid1(VALU_DEP_4)
	v_cmp_gt_f32_e64 s0, 0, v17
	v_cmp_gt_f32_e64 s1, s34, v16
	;; [unrolled: 1-line block ×3, first 2 shown]
	v_cndmask_b32_e64 v52, 0, 0x42980000, vcc_lo
	v_cndmask_b32_e64 v53, 0, 0x42980000, s0
	s_delay_alu instid0(VALU_DEP_1)
	v_pk_fma_f32 v[94:95], v[14:15], v[52:53], v[94:95]
	v_pk_fma_f32 v[14:15], s[18:19], v[16:17], 1.0 op_sel_hi:[0,1,0] neg_lo:[1,0,0] neg_hi:[1,0,0]
	v_cndmask_b32_e64 v53, 0, 1.0, s3
	v_cndmask_b32_e64 v52, 0, 1.0, s1
	v_cmp_gt_f32_e64 s1, s31, v17
	v_cmp_gt_f32_e64 s3, s31, v16
	v_cndmask_b32_e64 v15, v15, 1.0, s0
	v_cndmask_b32_e64 v14, v14, 1.0, vcc_lo
	s_and_b32 s1, s30, s1
	s_and_b32 s3, s30, s3
	s_cmp_lg_u32 s29, 0
	s_delay_alu instid0(VALU_DEP_1) | instskip(SKIP_3) | instid1(VALU_DEP_4)
	v_pk_mul_f32 v[14:15], v[52:53], v[14:15]
	v_pk_fma_f32 v[52:53], v[98:99], v[16:17], 1.0 op_sel_hi:[0,1,0] neg_lo:[1,0,0] neg_hi:[1,0,0]
	v_cndmask_b32_e64 v17, 0, 1.0, s1
	v_cndmask_b32_e64 v16, 0, 1.0, s3
	v_pk_mul_f32 v[14:15], v[100:101], v[14:15] op_sel_hi:[0,1]
	s_delay_alu instid0(VALU_DEP_4) | instskip(SKIP_1) | instid1(VALU_DEP_4)
	v_cndmask_b32_e64 v53, v53, 1.0, s0
	v_cndmask_b32_e64 v52, v52, 1.0, vcc_lo
	v_pk_mul_f32 v[16:17], s[16:17], v[16:17] op_sel_hi:[0,1]
	s_delay_alu instid0(VALU_DEP_4) | instskip(SKIP_1) | instid1(VALU_DEP_1)
	v_cndmask_b32_e64 v15, v15, -|v15|, s33
	v_cndmask_b32_e64 v14, v14, -|v14|, s33
	v_pk_fma_f32 v[14:15], v[14:15], s[12:13], v[94:95] op_sel_hi:[1,0,1]
	s_delay_alu instid0(VALU_DEP_1)
	v_pk_fma_f32 v[94:95], v[52:53], v[16:17], v[14:15]
	s_cbranch_scc1 .LBB6_28
; %bb.29:                               ;   in Loop: Header=BB6_27 Depth=1
	s_add_co_i32 s19, s19, 1
	s_clause 0xb
	scratch_store_b128 off, v[84:87], off
	scratch_store_b128 off, v[72:75], off offset:16
	scratch_store_b128 off, v[60:63], off offset:32
	;; [unrolled: 1-line block ×11, first 2 shown]
	s_cmp_lg_u32 s19, s17
	s_clause 0x3
	scratch_store_b128 off, v[124:127], off offset:192
	scratch_store_b128 off, v[120:123], off offset:208
	;; [unrolled: 1-line block ×4, first 2 shown]
	s_cbranch_scc1 .LBB6_27
; %bb.30:
	s_wait_xcnt 0x0
	s_and_saveexec_b32 s0, s2
	s_cbranch_execz .LBB6_32
; %bb.31:
	s_clause 0xc
	scratch_load_b128 v[0:3], off, off offset:64
	scratch_load_b128 v[4:7], off, off offset:80
	scratch_load_b32 v123, off, off offset:6032 th:TH_LOAD_LU
	scratch_load_b128 v[8:11], off, off offset:96
	scratch_load_b128 v[12:15], off, off offset:112
	;; [unrolled: 1-line block ×10, first 2 shown]
	v_dual_mul_f32 v85, 0.5, v85 :: v_dual_mul_f32 v86, 0.5, v86
	v_dual_mul_f32 v72, 0.5, v72 :: v_dual_mul_f32 v73, 0.5, v73
	;; [unrolled: 1-line block ×6, first 2 shown]
	v_mul_f32_e32 v84, 0.5, v84
	s_wait_loadcnt 0xc
	v_dual_mul_f32 v60, 0.5, v60 :: v_dual_mul_f32 v1, 0.5, v1
	s_wait_loadcnt 0xa
	v_dual_mul_f32 v2, 0.5, v2 :: v_dual_add_nc_u32 v52, s26, v123
	v_dual_mul_f32 v3, 0.5, v3 :: v_dual_mul_f32 v4, 0.5, v4
	v_dual_mul_f32 v5, 0.5, v5 :: v_dual_mul_f32 v6, 0.5, v6
	s_delay_alu instid0(VALU_DEP_3) | instskip(SKIP_2) | instid1(VALU_DEP_2)
	v_dual_add_nc_u32 v53, s26, v52 :: v_dual_mul_f32 v7, 0.5, v7
	s_wait_loadcnt 0x9
	v_dual_mul_f32 v8, 0.5, v8 :: v_dual_mul_f32 v9, 0.5, v9
	v_dual_mul_f32 v10, 0.5, v10 :: v_dual_add_nc_u32 v54, s26, v53
	s_wait_loadcnt 0x8
	v_dual_mul_f32 v11, 0.5, v11 :: v_dual_mul_f32 v12, 0.5, v12
	v_dual_mul_f32 v13, 0.5, v13 :: v_dual_mul_f32 v14, 0.5, v14
	s_delay_alu instid0(VALU_DEP_3) | instskip(SKIP_2) | instid1(VALU_DEP_2)
	v_dual_add_nc_u32 v55, s26, v54 :: v_dual_mul_f32 v15, 0.5, v15
	s_wait_loadcnt 0x7
	v_dual_mul_f32 v16, 0.5, v16 :: v_dual_mul_f32 v17, 0.5, v17
	v_dual_mul_f32 v18, 0.5, v18 :: v_dual_add_nc_u32 v56, s26, v55
	s_wait_loadcnt 0x6
	;; [unrolled: 8-line block ×5, first 2 shown]
	v_dual_mul_f32 v43, 0.5, v43 :: v_dual_mul_f32 v44, 0.5, v44
	v_dual_mul_f32 v45, 0.5, v45 :: v_dual_mul_f32 v46, 0.5, v46
	s_delay_alu instid0(VALU_DEP_3) | instskip(NEXT) | instid1(VALU_DEP_1)
	v_dual_add_nc_u32 v67, s26, v66 :: v_dual_mul_f32 v47, 0.5, v47
	v_dual_mul_f32 v0, 0.5, v0 :: v_dual_add_nc_u32 v68, s26, v67
	s_delay_alu instid0(VALU_DEP_1) | instskip(NEXT) | instid1(VALU_DEP_1)
	v_add_nc_u32_e32 v69, s26, v68
	v_add_nc_u32_e32 v70, s26, v69
	s_delay_alu instid0(VALU_DEP_1) | instskip(NEXT) | instid1(VALU_DEP_1)
	v_add_nc_u32_e32 v71, s26, v70
	v_add_nc_u32_e32 v76, s26, v71
	;; [unrolled: 3-line block ×20, first 2 shown]
	s_delay_alu instid0(VALU_DEP_1)
	v_dual_mul_f32 v87, 0.5, v87 :: v_dual_add_nc_u32 v117, s26, v116
	s_clause 0x7
	global_store_b32 v123, v84, s[4:5] scale_offset
	global_store_b32 v52, v85, s[4:5] scale_offset
	;; [unrolled: 1-line block ×8, first 2 shown]
	v_dual_mul_f32 v63, 0.5, v63 :: v_dual_add_nc_u32 v118, s26, v117
	s_delay_alu instid0(VALU_DEP_1)
	v_add_nc_u32_e32 v119, s26, v118
	s_clause 0x7
	global_store_b32 v59, v60, s[4:5] scale_offset
	global_store_b32 v64, v61, s[4:5] scale_offset
	;; [unrolled: 1-line block ×8, first 2 shown]
	v_add_nc_u32_e32 v120, s26, v119
	s_delay_alu instid0(VALU_DEP_1) | instskip(NEXT) | instid1(VALU_DEP_1)
	v_add_nc_u32_e32 v121, s26, v120
	v_add_nc_u32_e32 v122, s26, v121
	s_wait_xcnt 0xe
	s_delay_alu instid0(VALU_DEP_1) | instskip(SKIP_1) | instid1(VALU_DEP_1)
	v_add_nc_u32_e32 v52, s26, v122
	s_wait_xcnt 0xd
	v_add_nc_u32_e32 v53, s26, v52
	s_wait_xcnt 0xc
	s_delay_alu instid0(VALU_DEP_1) | instskip(SKIP_1) | instid1(VALU_DEP_1)
	v_add_nc_u32_e32 v54, s26, v53
	s_wait_xcnt 0x3
	v_add_nc_u32_e32 v48, s26, v54
	s_clause 0x2f
	global_store_b32 v71, v0, s[4:5] scale_offset
	global_store_b32 v76, v1, s[4:5] scale_offset
	;; [unrolled: 1-line block ×48, first 2 shown]
.LBB6_32:
	s_sendmsg sendmsg(MSG_DEALLOC_VGPRS)
	s_endpgm
	.section	.rodata,"a",@progbits
	.p2align	6, 0x0
	.amdhsa_kernel _ZL11fasten_mainILm64EEviiPK4AtomS2_PKfS4_S4_S4_S4_S4_PfPK8FFParamsi
		.amdhsa_group_segment_fixed_size 0
		.amdhsa_private_segment_fixed_size 6048
		.amdhsa_kernarg_size 352
		.amdhsa_user_sgpr_count 2
		.amdhsa_user_sgpr_dispatch_ptr 0
		.amdhsa_user_sgpr_queue_ptr 0
		.amdhsa_user_sgpr_kernarg_segment_ptr 1
		.amdhsa_user_sgpr_dispatch_id 0
		.amdhsa_user_sgpr_kernarg_preload_length 0
		.amdhsa_user_sgpr_kernarg_preload_offset 0
		.amdhsa_user_sgpr_private_segment_size 0
		.amdhsa_wavefront_size32 1
		.amdhsa_uses_dynamic_stack 0
		.amdhsa_enable_private_segment 1
		.amdhsa_system_sgpr_workgroup_id_x 1
		.amdhsa_system_sgpr_workgroup_id_y 0
		.amdhsa_system_sgpr_workgroup_id_z 0
		.amdhsa_system_sgpr_workgroup_info 0
		.amdhsa_system_vgpr_workitem_id 0
		.amdhsa_next_free_vgpr 128
		.amdhsa_next_free_sgpr 35
		.amdhsa_named_barrier_count 0
		.amdhsa_reserve_vcc 1
		.amdhsa_float_round_mode_32 0
		.amdhsa_float_round_mode_16_64 0
		.amdhsa_float_denorm_mode_32 3
		.amdhsa_float_denorm_mode_16_64 3
		.amdhsa_fp16_overflow 0
		.amdhsa_memory_ordered 1
		.amdhsa_forward_progress 1
		.amdhsa_inst_pref_size 255
		.amdhsa_round_robin_scheduling 0
		.amdhsa_exception_fp_ieee_invalid_op 0
		.amdhsa_exception_fp_denorm_src 0
		.amdhsa_exception_fp_ieee_div_zero 0
		.amdhsa_exception_fp_ieee_overflow 0
		.amdhsa_exception_fp_ieee_underflow 0
		.amdhsa_exception_fp_ieee_inexact 0
		.amdhsa_exception_int_div_zero 0
	.end_amdhsa_kernel
	.section	.text._ZL11fasten_mainILm64EEviiPK4AtomS2_PKfS4_S4_S4_S4_S4_PfPK8FFParamsi,"axG",@progbits,_ZL11fasten_mainILm64EEviiPK4AtomS2_PKfS4_S4_S4_S4_S4_PfPK8FFParamsi,comdat
.Lfunc_end6:
	.size	_ZL11fasten_mainILm64EEviiPK4AtomS2_PKfS4_S4_S4_S4_S4_PfPK8FFParamsi, .Lfunc_end6-_ZL11fasten_mainILm64EEviiPK4AtomS2_PKfS4_S4_S4_S4_S4_PfPK8FFParamsi
                                        ; -- End function
	.set _ZL11fasten_mainILm64EEviiPK4AtomS2_PKfS4_S4_S4_S4_S4_PfPK8FFParamsi.num_vgpr, 128
	.set _ZL11fasten_mainILm64EEviiPK4AtomS2_PKfS4_S4_S4_S4_S4_PfPK8FFParamsi.num_agpr, 0
	.set _ZL11fasten_mainILm64EEviiPK4AtomS2_PKfS4_S4_S4_S4_S4_PfPK8FFParamsi.numbered_sgpr, 35
	.set _ZL11fasten_mainILm64EEviiPK4AtomS2_PKfS4_S4_S4_S4_S4_PfPK8FFParamsi.num_named_barrier, 0
	.set _ZL11fasten_mainILm64EEviiPK4AtomS2_PKfS4_S4_S4_S4_S4_PfPK8FFParamsi.private_seg_size, 6048
	.set _ZL11fasten_mainILm64EEviiPK4AtomS2_PKfS4_S4_S4_S4_S4_PfPK8FFParamsi.uses_vcc, 1
	.set _ZL11fasten_mainILm64EEviiPK4AtomS2_PKfS4_S4_S4_S4_S4_PfPK8FFParamsi.uses_flat_scratch, 1
	.set _ZL11fasten_mainILm64EEviiPK4AtomS2_PKfS4_S4_S4_S4_S4_PfPK8FFParamsi.has_dyn_sized_stack, 0
	.set _ZL11fasten_mainILm64EEviiPK4AtomS2_PKfS4_S4_S4_S4_S4_PfPK8FFParamsi.has_recursion, 0
	.set _ZL11fasten_mainILm64EEviiPK4AtomS2_PKfS4_S4_S4_S4_S4_PfPK8FFParamsi.has_indirect_call, 0
	.section	.AMDGPU.csdata,"",@progbits
; Kernel info:
; codeLenInByte = 44132
; TotalNumSgprs: 37
; NumVgprs: 128
; ScratchSize: 6048
; MemoryBound: 0
; FloatMode: 240
; IeeeMode: 1
; LDSByteSize: 0 bytes/workgroup (compile time only)
; SGPRBlocks: 0
; VGPRBlocks: 7
; NumSGPRsForWavesPerEU: 37
; NumVGPRsForWavesPerEU: 128
; NamedBarCnt: 0
; Occupancy: 8
; WaveLimiterHint : 1
; COMPUTE_PGM_RSRC2:SCRATCH_EN: 1
; COMPUTE_PGM_RSRC2:USER_SGPR: 2
; COMPUTE_PGM_RSRC2:TRAP_HANDLER: 0
; COMPUTE_PGM_RSRC2:TGID_X_EN: 1
; COMPUTE_PGM_RSRC2:TGID_Y_EN: 0
; COMPUTE_PGM_RSRC2:TGID_Z_EN: 0
; COMPUTE_PGM_RSRC2:TIDIG_COMP_CNT: 0
	.section	.text._ZL11fasten_mainILm128EEviiPK4AtomS2_PKfS4_S4_S4_S4_S4_PfPK8FFParamsi,"axG",@progbits,_ZL11fasten_mainILm128EEviiPK4AtomS2_PKfS4_S4_S4_S4_S4_PfPK8FFParamsi,comdat
	.globl	_ZL11fasten_mainILm128EEviiPK4AtomS2_PKfS4_S4_S4_S4_S4_PfPK8FFParamsi ; -- Begin function _ZL11fasten_mainILm128EEviiPK4AtomS2_PKfS4_S4_S4_S4_S4_PfPK8FFParamsi
	.p2align	8
	.type	_ZL11fasten_mainILm128EEviiPK4AtomS2_PKfS4_S4_S4_S4_S4_PfPK8FFParamsi,@function
_ZL11fasten_mainILm128EEviiPK4AtomS2_PKfS4_S4_S4_S4_S4_PfPK8FFParamsi: ; @_ZL11fasten_mainILm128EEviiPK4AtomS2_PKfS4_S4_S4_S4_S4_PfPK8FFParamsi
; %bb.0:
	s_clause 0x1
	s_load_b32 s2, s[0:1], 0x6c
	s_load_b32 s3, s[0:1], 0x58
	s_bfe_u32 s4, ttmp6, 0x4000c
	s_and_b32 s5, ttmp6, 15
	s_add_co_i32 s4, s4, 1
	s_getreg_b32 s6, hwreg(HW_REG_IB_STS2, 6, 4)
	s_mul_i32 s4, ttmp9, s4
	s_load_b512 s[16:31], s[0:1], 0x8
	s_add_co_i32 s5, s5, s4
	s_mov_b32 s7, 0
	s_mov_b64 s[8:9], 0xfe5163ab
	s_mov_b32 s10, 0xb94c1982
	s_mov_b32 s11, 0x37d75334
	;; [unrolled: 1-line block ×4, first 2 shown]
	v_mov_b32_e32 v15, 0
	s_wait_kmcnt 0x0
	s_and_b32 s13, s2, 0xffff
	s_cmp_eq_u32 s6, 0
	s_cselect_b32 s2, ttmp9, s5
	s_add_co_i32 s4, s3, 0xffffff80
	s_mul_i32 s2, s2, s13
	s_mov_b32 s5, 0x7fffff
	v_lshl_add_u32 v72, s2, 7, v0
	s_lshl_b32 s6, s13, 2
	s_delay_alu instid0(VALU_DEP_1) | instskip(NEXT) | instid1(VALU_DEP_1)
	v_cmp_gt_i32_e64 s2, s3, v72
	v_cndmask_b32_e64 v0, s4, v72, s2
	s_delay_alu instid0(VALU_DEP_1) | instskip(NEXT) | instid1(VALU_DEP_1)
	v_ashrrev_i32_e32 v1, 31, v0
	v_lshlrev_b64_e32 v[12:13], 2, v[0:1]
	s_branch .LBB7_2
.LBB7_1:                                ;   in Loop: Header=BB7_2 Depth=1
	s_or_b32 exec_lo, exec_lo, s3
	v_add_nc_u64_e32 v[26:27], s[26:27], v[12:13]
	v_add_nc_u64_e32 v[28:29], s[28:29], v[12:13]
	;; [unrolled: 1-line block ×3, first 2 shown]
	v_dual_mul_f32 v32, v2, v2 :: v_dual_bitop2_b32 v33, 1, v4 bitop3:0x40
	v_dual_lshlrev_b32 v4, 30, v4 :: v_dual_mul_f32 v34, v23, v23
	global_load_b32 v11, v[26:27], off
	global_load_b32 v7, v[28:29], off
	;; [unrolled: 1-line block ×3, first 2 shown]
	v_dual_mul_f32 v14, v21, v21 :: v_dual_bitop2_b32 v25, 1, v22 bitop3:0x40
	s_wait_xcnt 0x0
	v_dual_mul_f32 v30, v5, v5 :: v_dual_bitop2_b32 v31, 1, v8 bitop3:0x40
	v_fmaak_f32 v46, s10, v34, 0x3c0881c4
	s_delay_alu instid0(VALU_DEP_3) | instskip(SKIP_1) | instid1(VALU_DEP_4)
	v_fmaak_f32 v36, s10, v14, 0x3c0881c4
	v_dual_lshlrev_b32 v22, 30, v22 :: v_dual_mul_f32 v26, v17, v17
	v_fmaak_f32 v42, s10, v30, 0x3c0881c4
	s_delay_alu instid0(VALU_DEP_4) | instskip(SKIP_2) | instid1(VALU_DEP_4)
	v_fmaak_f32 v46, v34, v46, 0xbe2aaa9d
	v_fmaak_f32 v45, s11, v32, 0xbab64f3b
	v_dual_mul_f32 v28, v10, v10 :: v_dual_bitop2_b32 v27, 1, v19 bitop3:0x40
	v_fmaak_f32 v42, v30, v42, 0xbe2aaa9d
	s_delay_alu instid0(VALU_DEP_4) | instskip(SKIP_2) | instid1(VALU_DEP_4)
	v_mul_f32_e32 v46, v34, v46
	v_fmaak_f32 v36, v14, v36, 0xbe2aaa9d
	v_fmaak_f32 v45, v32, v45, 0x3d2aabf7
	v_dual_fmaak_f32 v41, s11, v28, 0xbab64f3b :: v_dual_mul_f32 v42, v30, v42
	s_delay_alu instid0(VALU_DEP_4) | instskip(NEXT) | instid1(VALU_DEP_4)
	v_fmac_f32_e32 v23, v23, v46
	v_dual_fmaak_f32 v37, s11, v14, 0xbab64f3b :: v_dual_mul_f32 v36, v14, v36
	v_fmaak_f32 v38, s10, v26, 0x3c0881c4
	s_delay_alu instid0(VALU_DEP_4) | instskip(SKIP_1) | instid1(VALU_DEP_3)
	v_dual_fmaak_f32 v44, s10, v32, 0x3c0881c4 :: v_dual_fmac_f32 v5, v5, v42
	v_fmaak_f32 v45, v32, v45, 0xbf000004
	v_dual_fmac_f32 v21, v21, v36 :: v_dual_fmaak_f32 v38, v26, v38, 0xbe2aaa9d
	v_xor_b32_e32 v1, v1, v0
	s_delay_alu instid0(VALU_DEP_4)
	v_fmaak_f32 v44, v32, v44, 0xbe2aaa9d
	v_fmaak_f32 v43, s11, v30, 0xbab64f3b
	v_cmp_eq_u32_e32 vcc_lo, 0, v25
	v_mul_f32_e32 v38, v26, v38
	v_fmaak_f32 v40, s10, v28, 0x3c0881c4
	v_mul_f32_e32 v44, v32, v44
	v_fmaak_f32 v41, v28, v41, 0x3d2aabf7
	v_fma_f32 v32, v32, v45, 1.0
	s_delay_alu instid0(VALU_DEP_4) | instskip(NEXT) | instid1(VALU_DEP_4)
	v_dual_fmac_f32 v17, v17, v38 :: v_dual_fmaak_f32 v40, v28, v40, 0xbe2aaa9d
	v_dual_fmaak_f32 v39, s11, v26, 0xbab64f3b :: v_dual_fmac_f32 v2, v2, v44
	s_delay_alu instid0(VALU_DEP_4) | instskip(SKIP_1) | instid1(VALU_DEP_4)
	v_fmaak_f32 v41, v28, v41, 0xbf000004
	v_dual_lshlrev_b32 v16, 30, v16 :: v_dual_bitop2_b32 v29, 1, v16 bitop3:0x40
	v_dual_mul_f32 v40, v28, v40 :: v_dual_fmaak_f32 v47, s11, v34, 0xbab64f3b
	s_delay_alu instid0(VALU_DEP_3) | instskip(SKIP_2) | instid1(VALU_DEP_4)
	v_fma_f32 v28, v28, v41, 1.0
	v_fmaak_f32 v39, v26, v39, 0x3d2aabf7
	v_fmaak_f32 v43, v30, v43, 0x3d2aabf7
	v_fmac_f32_e32 v10, v10, v40
	v_fmaak_f32 v37, v14, v37, 0x3d2aabf7
	v_fmaak_f32 v47, v34, v47, 0x3d2aabf7
	;; [unrolled: 1-line block ×4, first 2 shown]
	v_dual_lshlrev_b32 v24, 30, v24 :: v_dual_bitop2_b32 v35, 1, v24 bitop3:0x40
	v_fmaak_f32 v37, v14, v37, 0xbf000004
	s_delay_alu instid0(VALU_DEP_4) | instskip(NEXT) | instid1(VALU_DEP_4)
	v_fma_f32 v26, v26, v39, 1.0
	v_fma_f32 v30, v30, v43, 1.0
	v_fmaak_f32 v47, v34, v47, 0xbf000004
	v_dual_lshlrev_b32 v19, 30, v19 :: v_dual_bitop2_b32 v20, v20, v18 bitop3:0x14
	v_fma_f32 v14, v14, v37, 1.0
	v_dual_lshlrev_b32 v8, 30, v8 :: v_dual_bitop2_b32 v9, v9, v6 bitop3:0x14
	s_delay_alu instid0(VALU_DEP_4) | instskip(SKIP_1) | instid1(VALU_DEP_4)
	v_fma_f32 v34, v34, v47, 1.0
	v_and_b32_e32 v4, 0x80000000, v4
	v_cndmask_b32_e32 v14, v14, v21, vcc_lo
	v_cmp_eq_u32_e32 vcc_lo, 0, v27
	v_and_b32_e32 v22, 0x80000000, v22
	v_and_b32_e32 v16, 0x80000000, v16
	v_cmp_class_f32_e64 s3, v0, 0x1f8
	v_cmp_class_f32_e64 s4, v6, 0x1f8
	v_cndmask_b32_e64 v17, -v17, v26, vcc_lo
	v_cmp_eq_u32_e32 vcc_lo, 0, v29
	v_xor3_b32 v14, v20, v22, v14
	v_add_nc_u64_e32 v[12:13], s[6:7], v[12:13]
	s_add_co_i32 s15, s14, 0x200
	v_bitop3_b32 v17, v19, v17, 0x80000000 bitop3:0x6c
	v_cndmask_b32_e32 v10, v28, v10, vcc_lo
	v_cmp_eq_u32_e32 vcc_lo, 0, v31
	s_add_co_i32 s14, s14, 48
	s_mov_b32 s33, s12
	v_cndmask_b32_e64 v6, 0x7fc00000, v17, s4
	v_xor3_b32 v9, v9, v16, v10
	v_cndmask_b32_e64 v5, -v5, v30, vcc_lo
	v_cmp_eq_u32_e32 vcc_lo, 0, v33
	s_add_co_i32 s12, s12, 4
	s_cmp_lg_u32 s14, 0x1800
	s_delay_alu instid0(VALU_DEP_2) | instskip(SKIP_2) | instid1(VALU_DEP_3)
	v_bitop3_b32 v5, v8, v5, 0x80000000 bitop3:0x6c
	v_cndmask_b32_e32 v2, v32, v2, vcc_lo
	v_cmp_eq_u32_e32 vcc_lo, 0, v35
	v_cndmask_b32_e64 v17, 0x7fc00000, v5, s3
	s_delay_alu instid0(VALU_DEP_3) | instskip(SKIP_2) | instid1(VALU_DEP_4)
	v_xor3_b32 v1, v1, v4, v2
	v_cndmask_b32_e64 v21, -v23, v34, vcc_lo
	v_cmp_class_f32_e64 vcc_lo, v18, 0x1f8
	v_mov_b32_e32 v18, v17
	s_delay_alu instid0(VALU_DEP_4) | instskip(NEXT) | instid1(VALU_DEP_4)
	v_cndmask_b32_e64 v16, 0x7fc00000, v1, s3
	v_bitop3_b32 v0, v24, v21, 0x80000000 bitop3:0x6c
	s_delay_alu instid0(VALU_DEP_2) | instskip(NEXT) | instid1(VALU_DEP_2)
	v_dual_cndmask_b32 v2, 0x7fc00000, v14 :: v_dual_mov_b32 v19, v16
	v_cndmask_b32_e32 v10, 0x7fc00000, v0, vcc_lo
	v_cndmask_b32_e64 v0, 0x7fc00000, v9, s4
	s_delay_alu instid0(VALU_DEP_3) | instskip(NEXT) | instid1(VALU_DEP_3)
	v_mul_f32_e32 v4, v6, v2
	v_mul_f32_e32 v8, v6, v10
	s_delay_alu instid0(VALU_DEP_3) | instskip(SKIP_3) | instid1(VALU_DEP_3)
	v_pk_mul_f32 v[20:21], v[16:17], v[0:1] op_sel_hi:[1,0]
	v_xor_b32_e32 v0, 0x80000000, v0
	s_wait_loadcnt 0x2
	v_pk_mul_f32 v[18:19], v[18:19], v[10:11] op_sel_hi:[1,0]
	v_pk_mul_f32 v[24:25], v[20:21], v[10:11] op_sel_hi:[1,0]
	s_wait_loadcnt 0x0
	v_pk_mul_f32 v[22:23], v[16:17], v[2:3] op_sel_hi:[1,0]
	v_pk_mul_f32 v[28:29], v[20:21], v[2:3] op_sel_hi:[1,0]
	;; [unrolled: 1-line block ×3, first 2 shown]
	s_delay_alu instid0(VALU_DEP_3) | instskip(SKIP_3) | instid1(VALU_DEP_4)
	v_pk_fma_f32 v[26:27], v[20:21], v[10:11], v[22:23] op_sel:[0,0,1] op_sel_hi:[1,0,0]
	v_pk_fma_f32 v[20:21], v[20:21], v[2:3], v[18:19] op_sel_hi:[1,0,1] neg_lo:[0,0,1] neg_hi:[0,0,1]
	v_sub_f32_e32 v9, v24, v23
	v_add_f32_e32 v5, v28, v18
	v_dual_mov_b32 v1, v16 :: v_dual_mov_b32 v10, v27
	s_delay_alu instid0(VALU_DEP_4)
	v_dual_mov_b32 v6, v21 :: v_dual_mov_b32 v2, v17
	s_clause 0x2
	scratch_store_b128 off, v[8:11], s15
	scratch_store_b128 off, v[4:7], s15 offset:16
	scratch_store_b128 off, v[0:3], s15 offset:32
	scratch_store_b32 off, v15, s33
	s_cbranch_scc0 .LBB7_26
.LBB7_2:                                ; =>This Inner Loop Header: Depth=1
	s_wait_xcnt 0x1
	s_delay_alu instid0(VALU_DEP_1)
	v_add_nc_u64_e32 v[0:1], s[20:21], v[12:13]
                                        ; implicit-def: $vgpr4
	global_load_b32 v0, v[0:1], off
	s_wait_loadcnt 0x0
	s_wait_xcnt 0x0
	v_and_b32_e32 v1, 0x7fffffff, v0
	v_cmp_ngt_f32_e64 s15, 0x48000000, |v0|
	s_delay_alu instid0(VALU_DEP_2) | instskip(SKIP_1) | instid1(VALU_DEP_2)
	v_lshrrev_b32_e32 v2, 23, v1
	v_and_or_b32 v14, v1, s5, 0x800000
	v_add_nc_u32_e32 v3, 0xffffff88, v2
                                        ; implicit-def: $vgpr2
	s_and_saveexec_b32 s3, s15
	s_delay_alu instid0(SALU_CYCLE_1)
	s_xor_b32 s33, exec_lo, s3
	s_cbranch_execz .LBB7_4
; %bb.3:                                ;   in Loop: Header=BB7_2 Depth=1
	v_mul_u64_e32 v[4:5], s[8:9], v[14:15]
	v_mov_b32_e32 v7, v15
	v_cmp_lt_u32_e32 vcc_lo, 63, v3
	v_mov_b32_e32 v21, v15
	v_cndmask_b32_e64 v2, 0, 0xffffffc0, vcc_lo
	s_delay_alu instid0(VALU_DEP_1) | instskip(NEXT) | instid1(VALU_DEP_1)
	v_add_nc_u32_e32 v2, v2, v3
	v_cmp_lt_u32_e64 s3, 31, v2
	v_mov_b32_e32 v6, v5
	s_delay_alu instid0(VALU_DEP_2) | instskip(NEXT) | instid1(VALU_DEP_2)
	v_cndmask_b32_e64 v5, 0, 0xffffffe0, s3
	v_mad_nc_u64_u32 v[6:7], 0x3c439041, v14, v[6:7]
	s_delay_alu instid0(VALU_DEP_2) | instskip(NEXT) | instid1(VALU_DEP_1)
	v_dual_mov_b32 v9, v15 :: v_dual_add_nc_u32 v2, v5, v2
	v_cmp_lt_u32_e64 s4, 31, v2
	s_delay_alu instid0(VALU_DEP_3) | instskip(NEXT) | instid1(VALU_DEP_2)
	v_mov_b32_e32 v8, v7
	v_cndmask_b32_e64 v5, 0, 0xffffffe0, s4
	s_delay_alu instid0(VALU_DEP_2) | instskip(NEXT) | instid1(VALU_DEP_1)
	v_mad_nc_u64_u32 v[8:9], 0xdb629599, v14, v[8:9]
	v_dual_mov_b32 v11, v15 :: v_dual_mov_b32 v10, v9
	s_delay_alu instid0(VALU_DEP_2) | instskip(NEXT) | instid1(VALU_DEP_2)
	v_cndmask_b32_e32 v4, v8, v4, vcc_lo
	v_mad_nc_u64_u32 v[10:11], 0xf534ddc0, v14, v[10:11]
	s_delay_alu instid0(VALU_DEP_1) | instskip(NEXT) | instid1(VALU_DEP_1)
	v_dual_mov_b32 v17, v15 :: v_dual_mov_b32 v16, v11
	v_mad_nc_u64_u32 v[16:17], 0xfc2757d1, v14, v[16:17]
	s_delay_alu instid0(VALU_DEP_1) | instskip(NEXT) | instid1(VALU_DEP_1)
	v_dual_mov_b32 v19, v15 :: v_dual_mov_b32 v18, v17
	v_mad_nc_u64_u32 v[18:19], 0x4e441529, v14, v[18:19]
	s_delay_alu instid0(VALU_DEP_1) | instskip(NEXT) | instid1(VALU_DEP_1)
	v_mov_b32_e32 v20, v19
	v_mad_nc_u64_u32 v[20:21], 0xa2f9836e, v14, v[20:21]
	s_delay_alu instid0(VALU_DEP_1) | instskip(NEXT) | instid1(VALU_DEP_2)
	v_dual_cndmask_b32 v7, v18, v10, vcc_lo :: v_dual_cndmask_b32 v9, v20, v16, vcc_lo
	v_dual_cndmask_b32 v11, v21, v18 :: v_dual_cndmask_b32 v16, v16, v8
	v_add_nc_u32_e32 v2, v5, v2
	s_delay_alu instid0(VALU_DEP_3) | instskip(NEXT) | instid1(VALU_DEP_3)
	v_dual_cndmask_b32 v5, v10, v6, vcc_lo :: v_dual_cndmask_b32 v6, v9, v7, s3
	v_cndmask_b32_e64 v9, v11, v9, s3
	s_delay_alu instid0(VALU_DEP_3) | instskip(NEXT) | instid1(VALU_DEP_3)
	v_dual_cndmask_b32 v7, v7, v16, s3 :: v_dual_sub_nc_u32 v10, 32, v2
	v_cndmask_b32_e64 v11, v16, v5, s3
	v_cmp_eq_u32_e32 vcc_lo, 0, v2
	s_delay_alu instid0(VALU_DEP_3) | instskip(NEXT) | instid1(VALU_DEP_1)
	v_dual_cndmask_b32 v9, v9, v6, s4 :: v_dual_cndmask_b32 v6, v6, v7, s4
	v_alignbit_b32 v16, v9, v6, v10
	s_delay_alu instid0(VALU_DEP_1) | instskip(NEXT) | instid1(VALU_DEP_1)
	v_dual_cndmask_b32 v7, v7, v11, s4 :: v_dual_cndmask_b32 v2, v16, v9, vcc_lo
	v_alignbit_b32 v8, v6, v7, v10
	s_delay_alu instid0(VALU_DEP_1) | instskip(NEXT) | instid1(VALU_DEP_3)
	v_dual_cndmask_b32 v4, v5, v4, s3 :: v_dual_cndmask_b32 v5, v8, v6, vcc_lo
	v_bfe_u32 v6, v2, 29, 1
	s_delay_alu instid0(VALU_DEP_2) | instskip(NEXT) | instid1(VALU_DEP_3)
	v_cndmask_b32_e64 v4, v11, v4, s4
	v_alignbit_b32 v8, v2, v5, 30
	s_delay_alu instid0(VALU_DEP_3) | instskip(NEXT) | instid1(VALU_DEP_3)
	v_sub_nc_u32_e32 v9, 0, v6
	v_alignbit_b32 v10, v7, v4, v10
	s_delay_alu instid0(VALU_DEP_1) | instskip(NEXT) | instid1(VALU_DEP_1)
	v_dual_cndmask_b32 v7, v10, v7, vcc_lo :: v_dual_bitop2_b32 v8, v8, v9 bitop3:0x14
	v_clz_i32_u32_e32 v10, v8
	s_delay_alu instid0(VALU_DEP_2) | instskip(SKIP_1) | instid1(VALU_DEP_3)
	v_alignbit_b32 v5, v5, v7, 30
	v_alignbit_b32 v4, v7, v4, 30
	v_min_u32_e32 v10, 32, v10
	s_delay_alu instid0(VALU_DEP_3) | instskip(NEXT) | instid1(VALU_DEP_3)
	v_xor_b32_e32 v5, v5, v9
	v_dual_lshrrev_b32 v9, 29, v2 :: v_dual_bitop2_b32 v4, v4, v9 bitop3:0x14
	s_delay_alu instid0(VALU_DEP_3) | instskip(NEXT) | instid1(VALU_DEP_1)
	v_dual_sub_nc_u32 v7, 31, v10 :: v_dual_lshlrev_b32 v11, 23, v10
	v_alignbit_b32 v8, v8, v5, v7
	s_delay_alu instid0(VALU_DEP_3) | instskip(NEXT) | instid1(VALU_DEP_4)
	v_alignbit_b32 v4, v5, v4, v7
	v_lshlrev_b32_e32 v5, 31, v9
	s_delay_alu instid0(VALU_DEP_2) | instskip(NEXT) | instid1(VALU_DEP_2)
	v_alignbit_b32 v7, v8, v4, 9
	v_dual_lshrrev_b32 v8, 9, v8 :: v_dual_bitop2_b32 v9, 0.5, v5 bitop3:0x54
	v_or_b32_e32 v5, 0x33000000, v5
	s_delay_alu instid0(VALU_DEP_3) | instskip(NEXT) | instid1(VALU_DEP_3)
	v_clz_i32_u32_e32 v16, v7
	v_sub_nc_u32_e32 v9, v9, v11
	s_delay_alu instid0(VALU_DEP_2) | instskip(NEXT) | instid1(VALU_DEP_1)
	v_min_u32_e32 v11, 32, v16
	v_add_lshl_u32 v10, v11, v10, 23
	s_delay_alu instid0(VALU_DEP_3) | instskip(SKIP_1) | instid1(VALU_DEP_2)
	v_or_b32_e32 v8, v8, v9
	v_not_b32_e32 v9, v11
	v_dual_mul_f32 v16, 0x3fc90fda, v8 :: v_dual_sub_nc_u32 v5, v5, v10
	s_delay_alu instid0(VALU_DEP_2) | instskip(NEXT) | instid1(VALU_DEP_2)
	v_alignbit_b32 v4, v7, v4, v9
	v_fma_f32 v7, 0x3fc90fda, v8, -v16
	s_delay_alu instid0(VALU_DEP_2) | instskip(NEXT) | instid1(VALU_DEP_2)
	v_lshrrev_b32_e32 v4, 9, v4
	v_fmac_f32_e32 v7, 0x33a22168, v8
	s_delay_alu instid0(VALU_DEP_2) | instskip(NEXT) | instid1(VALU_DEP_1)
	v_or_b32_e32 v4, v5, v4
	v_dual_fmac_f32 v7, 0x3fc90fda, v4 :: v_dual_lshrrev_b32 v4, 30, v2
	s_delay_alu instid0(VALU_DEP_1)
	v_dual_add_nc_u32 v4, v6, v4 :: v_dual_add_f32 v2, v16, v7
.LBB7_4:                                ;   in Loop: Header=BB7_2 Depth=1
	s_or_saveexec_b32 s3, s33
	v_mul_f32_e64 v5, 0x3f22f983, |v0|
	s_delay_alu instid0(VALU_DEP_1)
	v_rndne_f32_e32 v6, v5
	s_xor_b32 exec_lo, exec_lo, s3
; %bb.5:                                ;   in Loop: Header=BB7_2 Depth=1
	s_delay_alu instid0(VALU_DEP_1) | instskip(SKIP_1) | instid1(VALU_DEP_2)
	v_fma_f32 v2, 0xbfc90fda, v6, |v0|
	v_cvt_i32_f32_e32 v4, v6
	v_fmac_f32_e32 v2, 0xb3a22168, v6
	s_delay_alu instid0(VALU_DEP_1)
	v_fmac_f32_e32 v2, 0xa7c234c4, v6
; %bb.6:                                ;   in Loop: Header=BB7_2 Depth=1
	s_or_b32 exec_lo, exec_lo, s3
                                        ; implicit-def: $vgpr8
                                        ; implicit-def: $vgpr5
	s_and_saveexec_b32 s3, s15
	s_delay_alu instid0(SALU_CYCLE_1)
	s_xor_b32 s15, exec_lo, s3
	s_cbranch_execz .LBB7_8
; %bb.7:                                ;   in Loop: Header=BB7_2 Depth=1
	v_mul_u64_e32 v[6:7], s[8:9], v[14:15]
	v_mov_b32_e32 v9, v15
	v_cmp_lt_u32_e32 vcc_lo, 63, v3
	v_mov_b32_e32 v23, v15
	v_cndmask_b32_e64 v5, 0, 0xffffffc0, vcc_lo
	s_delay_alu instid0(VALU_DEP_1) | instskip(NEXT) | instid1(VALU_DEP_1)
	v_add_nc_u32_e32 v3, v5, v3
	v_cmp_lt_u32_e64 s3, 31, v3
	s_delay_alu instid0(VALU_DEP_1) | instskip(SKIP_1) | instid1(VALU_DEP_1)
	v_cndmask_b32_e64 v5, 0, 0xffffffe0, s3
	v_mov_b32_e32 v8, v7
	v_mad_nc_u64_u32 v[8:9], 0x3c439041, v14, v[8:9]
	s_delay_alu instid0(VALU_DEP_1) | instskip(NEXT) | instid1(VALU_DEP_1)
	v_dual_mov_b32 v11, v15 :: v_dual_mov_b32 v10, v9
	v_mad_nc_u64_u32 v[10:11], 0xdb629599, v14, v[10:11]
	s_delay_alu instid0(VALU_DEP_1) | instskip(NEXT) | instid1(VALU_DEP_1)
	v_dual_mov_b32 v17, v15 :: v_dual_mov_b32 v16, v11
	;; [unrolled: 3-line block ×4, first 2 shown]
	v_mad_nc_u64_u32 v[20:21], 0x4e441529, v14, v[20:21]
	s_delay_alu instid0(VALU_DEP_1) | instskip(NEXT) | instid1(VALU_DEP_1)
	v_dual_mov_b32 v22, v21 :: v_dual_cndmask_b32 v7, v20, v16
	v_mad_nc_u64_u32 v[22:23], 0xa2f9836e, v14, v[22:23]
	v_dual_cndmask_b32 v14, v18, v10 :: v_dual_add_nc_u32 v3, v5, v3
	s_delay_alu instid0(VALU_DEP_2) | instskip(NEXT) | instid1(VALU_DEP_2)
	v_dual_cndmask_b32 v11, v23, v20, vcc_lo :: v_dual_cndmask_b32 v9, v22, v18, vcc_lo
	v_cmp_lt_u32_e64 s4, 31, v3
	s_delay_alu instid0(VALU_DEP_1) | instskip(NEXT) | instid1(VALU_DEP_1)
	v_cndmask_b32_e64 v5, 0, 0xffffffe0, s4
	v_dual_add_nc_u32 v3, v5, v3 :: v_dual_cndmask_b32 v5, v16, v8, vcc_lo
	s_delay_alu instid0(VALU_DEP_4) | instskip(NEXT) | instid1(VALU_DEP_2)
	v_dual_cndmask_b32 v8, v9, v7, s3 :: v_dual_cndmask_b32 v9, v11, v9, s3
	v_dual_cndmask_b32 v7, v7, v14, s3 :: v_dual_sub_nc_u32 v11, 32, v3
	s_delay_alu instid0(VALU_DEP_2) | instskip(NEXT) | instid1(VALU_DEP_1)
	v_dual_cndmask_b32 v14, v14, v5, s3 :: v_dual_cndmask_b32 v9, v9, v8, s4
	v_dual_cndmask_b32 v8, v8, v7, s4 :: v_dual_cndmask_b32 v7, v7, v14, s4
	s_delay_alu instid0(VALU_DEP_1) | instskip(SKIP_2) | instid1(VALU_DEP_4)
	v_alignbit_b32 v16, v9, v8, v11
	v_cndmask_b32_e32 v6, v10, v6, vcc_lo
	v_cmp_eq_u32_e32 vcc_lo, 0, v3
	v_alignbit_b32 v10, v8, v7, v11
	s_delay_alu instid0(VALU_DEP_3) | instskip(NEXT) | instid1(VALU_DEP_2)
	v_dual_cndmask_b32 v3, v16, v9, vcc_lo :: v_dual_cndmask_b32 v5, v5, v6, s3
	v_cndmask_b32_e32 v6, v10, v8, vcc_lo
	s_delay_alu instid0(VALU_DEP_2) | instskip(NEXT) | instid1(VALU_DEP_3)
	v_bfe_u32 v8, v3, 29, 1
	v_cndmask_b32_e64 v5, v14, v5, s4
	s_delay_alu instid0(VALU_DEP_3) | instskip(NEXT) | instid1(VALU_DEP_3)
	v_alignbit_b32 v9, v3, v6, 30
	v_sub_nc_u32_e32 v10, 0, v8
	s_delay_alu instid0(VALU_DEP_3) | instskip(NEXT) | instid1(VALU_DEP_1)
	v_alignbit_b32 v11, v7, v5, v11
	v_dual_cndmask_b32 v7, v11, v7, vcc_lo :: v_dual_bitop2_b32 v9, v9, v10 bitop3:0x14
	s_delay_alu instid0(VALU_DEP_1) | instskip(NEXT) | instid1(VALU_DEP_2)
	v_clz_i32_u32_e32 v11, v9
	v_alignbit_b32 v6, v6, v7, 30
	v_alignbit_b32 v5, v7, v5, 30
	s_delay_alu instid0(VALU_DEP_3) | instskip(NEXT) | instid1(VALU_DEP_3)
	v_min_u32_e32 v11, 32, v11
	v_xor_b32_e32 v6, v6, v10
	s_delay_alu instid0(VALU_DEP_3) | instskip(SKIP_1) | instid1(VALU_DEP_4)
	v_dual_lshrrev_b32 v10, 29, v3 :: v_dual_bitop2_b32 v5, v5, v10 bitop3:0x14
	v_lshrrev_b32_e32 v3, 30, v3
	v_dual_sub_nc_u32 v7, 31, v11 :: v_dual_lshlrev_b32 v14, 23, v11
	s_delay_alu instid0(VALU_DEP_2) | instskip(NEXT) | instid1(VALU_DEP_2)
	v_add_nc_u32_e32 v8, v8, v3
	v_alignbit_b32 v9, v9, v6, v7
	v_alignbit_b32 v5, v6, v5, v7
	v_lshlrev_b32_e32 v6, 31, v10
	s_delay_alu instid0(VALU_DEP_2) | instskip(NEXT) | instid1(VALU_DEP_2)
	v_alignbit_b32 v7, v9, v5, 9
	v_dual_lshrrev_b32 v9, 9, v9 :: v_dual_bitop2_b32 v10, 0.5, v6 bitop3:0x54
	v_or_b32_e32 v6, 0x33000000, v6
	s_delay_alu instid0(VALU_DEP_3) | instskip(NEXT) | instid1(VALU_DEP_3)
	v_clz_i32_u32_e32 v16, v7
	v_sub_nc_u32_e32 v10, v10, v14
	s_delay_alu instid0(VALU_DEP_2) | instskip(NEXT) | instid1(VALU_DEP_1)
	v_min_u32_e32 v14, 32, v16
	v_add_lshl_u32 v11, v14, v11, 23
	s_delay_alu instid0(VALU_DEP_3) | instskip(SKIP_1) | instid1(VALU_DEP_3)
	v_or_b32_e32 v9, v9, v10
	v_not_b32_e32 v10, v14
	v_sub_nc_u32_e32 v6, v6, v11
	s_delay_alu instid0(VALU_DEP_3) | instskip(NEXT) | instid1(VALU_DEP_3)
	v_mul_f32_e32 v16, 0x3fc90fda, v9
	v_alignbit_b32 v5, v7, v5, v10
	s_delay_alu instid0(VALU_DEP_2) | instskip(NEXT) | instid1(VALU_DEP_2)
	v_fma_f32 v7, 0x3fc90fda, v9, -v16
	v_lshrrev_b32_e32 v5, 9, v5
	s_delay_alu instid0(VALU_DEP_2) | instskip(NEXT) | instid1(VALU_DEP_2)
	v_fmac_f32_e32 v7, 0x33a22168, v9
	v_or_b32_e32 v5, v6, v5
                                        ; implicit-def: $vgpr6
	s_delay_alu instid0(VALU_DEP_1) | instskip(NEXT) | instid1(VALU_DEP_1)
	v_fmac_f32_e32 v7, 0x3fc90fda, v5
	v_add_f32_e32 v5, v16, v7
	s_and_not1_saveexec_b32 s3, s15
	s_cbranch_execnz .LBB7_9
	s_branch .LBB7_10
.LBB7_8:                                ;   in Loop: Header=BB7_2 Depth=1
	s_and_not1_saveexec_b32 s3, s15
.LBB7_9:                                ;   in Loop: Header=BB7_2 Depth=1
	v_fma_f32 v5, 0xbfc90fda, v6, |v0|
	v_cvt_i32_f32_e32 v8, v6
	s_delay_alu instid0(VALU_DEP_2) | instskip(NEXT) | instid1(VALU_DEP_1)
	v_fmac_f32_e32 v5, 0xb3a22168, v6
	v_fmac_f32_e32 v5, 0xa7c234c4, v6
.LBB7_10:                               ;   in Loop: Header=BB7_2 Depth=1
	s_or_b32 exec_lo, exec_lo, s3
	v_add_nc_u64_e32 v[6:7], s[22:23], v[12:13]
                                        ; implicit-def: $vgpr16
                                        ; implicit-def: $vgpr10
	global_load_b32 v6, v[6:7], off
	s_wait_loadcnt 0x0
	v_and_b32_e32 v9, 0x7fffffff, v6
	v_cmp_ngt_f32_e64 s15, 0x48000000, |v6|
	s_delay_alu instid0(VALU_DEP_2) | instskip(SKIP_1) | instid1(VALU_DEP_2)
	v_lshrrev_b32_e32 v3, 23, v9
	v_and_or_b32 v14, v9, s5, 0x800000
	v_add_nc_u32_e32 v3, 0xffffff88, v3
	s_wait_xcnt 0x0
	s_and_saveexec_b32 s3, s15
	s_delay_alu instid0(SALU_CYCLE_1)
	s_xor_b32 s33, exec_lo, s3
	s_cbranch_execz .LBB7_12
; %bb.11:                               ;   in Loop: Header=BB7_2 Depth=1
	v_mul_u64_e32 v[10:11], s[8:9], v[14:15]
	v_mov_b32_e32 v17, v15
	v_cmp_lt_u32_e32 vcc_lo, 63, v3
	v_cndmask_b32_e64 v7, 0, 0xffffffc0, vcc_lo
	s_delay_alu instid0(VALU_DEP_4) | instskip(NEXT) | instid1(VALU_DEP_1)
	v_mov_b32_e32 v16, v11
	v_mad_nc_u64_u32 v[16:17], 0x3c439041, v14, v[16:17]
	s_delay_alu instid0(VALU_DEP_1) | instskip(NEXT) | instid1(VALU_DEP_1)
	v_dual_mov_b32 v19, v15 :: v_dual_mov_b32 v18, v17
	v_mad_nc_u64_u32 v[18:19], 0xdb629599, v14, v[18:19]
	s_delay_alu instid0(VALU_DEP_1) | instskip(NEXT) | instid1(VALU_DEP_2)
	v_dual_mov_b32 v21, v15 :: v_dual_mov_b32 v20, v19
	v_cndmask_b32_e32 v10, v18, v10, vcc_lo
	s_delay_alu instid0(VALU_DEP_2) | instskip(NEXT) | instid1(VALU_DEP_1)
	v_mad_nc_u64_u32 v[20:21], 0xf534ddc0, v14, v[20:21]
	v_dual_mov_b32 v23, v15 :: v_dual_mov_b32 v22, v21
	s_delay_alu instid0(VALU_DEP_1) | instskip(NEXT) | instid1(VALU_DEP_1)
	v_mad_nc_u64_u32 v[22:23], 0xfc2757d1, v14, v[22:23]
	v_dual_mov_b32 v25, v15 :: v_dual_mov_b32 v24, v23
	s_delay_alu instid0(VALU_DEP_1) | instskip(SKIP_1) | instid1(VALU_DEP_2)
	v_mad_nc_u64_u32 v[24:25], 0x4e441529, v14, v[24:25]
	v_add_nc_u32_e32 v7, v7, v3
	v_dual_mov_b32 v27, v15 :: v_dual_cndmask_b32 v17, v24, v20, vcc_lo
	s_delay_alu instid0(VALU_DEP_3) | instskip(NEXT) | instid1(VALU_DEP_3)
	v_mov_b32_e32 v26, v25
	v_cmp_lt_u32_e64 s3, 31, v7
	s_delay_alu instid0(VALU_DEP_2) | instskip(NEXT) | instid1(VALU_DEP_2)
	v_mad_nc_u64_u32 v[26:27], 0xa2f9836e, v14, v[26:27]
	v_cndmask_b32_e64 v11, 0, 0xffffffe0, s3
	s_delay_alu instid0(VALU_DEP_1) | instskip(NEXT) | instid1(VALU_DEP_1)
	v_dual_add_nc_u32 v7, v11, v7 :: v_dual_cndmask_b32 v19, v26, v22, vcc_lo
	v_cmp_lt_u32_e64 s4, 31, v7
	s_delay_alu instid0(VALU_DEP_4) | instskip(NEXT) | instid1(VALU_DEP_2)
	v_dual_cndmask_b32 v21, v27, v24 :: v_dual_cndmask_b32 v22, v22, v18
	v_cndmask_b32_e64 v11, 0, 0xffffffe0, s4
	s_delay_alu instid0(VALU_DEP_1) | instskip(NEXT) | instid1(VALU_DEP_3)
	v_dual_add_nc_u32 v7, v11, v7 :: v_dual_cndmask_b32 v11, v20, v16, vcc_lo
	v_dual_cndmask_b32 v16, v19, v17, s3 :: v_dual_cndmask_b32 v19, v21, v19, s3
	s_delay_alu instid0(VALU_DEP_2) | instskip(NEXT) | instid1(VALU_DEP_3)
	v_dual_cndmask_b32 v17, v17, v22, s3 :: v_dual_sub_nc_u32 v20, 32, v7
	v_cndmask_b32_e64 v21, v22, v11, s3
	v_cmp_eq_u32_e32 vcc_lo, 0, v7
	s_delay_alu instid0(VALU_DEP_3) | instskip(NEXT) | instid1(VALU_DEP_1)
	v_dual_cndmask_b32 v19, v19, v16, s4 :: v_dual_cndmask_b32 v16, v16, v17, s4
	v_alignbit_b32 v22, v19, v16, v20
	s_delay_alu instid0(VALU_DEP_1) | instskip(NEXT) | instid1(VALU_DEP_1)
	v_dual_cndmask_b32 v17, v17, v21, s4 :: v_dual_cndmask_b32 v7, v22, v19, vcc_lo
	v_alignbit_b32 v18, v16, v17, v20
	s_delay_alu instid0(VALU_DEP_1) | instskip(NEXT) | instid1(VALU_DEP_3)
	v_dual_cndmask_b32 v10, v11, v10, s3 :: v_dual_cndmask_b32 v11, v18, v16, vcc_lo
	v_bfe_u32 v16, v7, 29, 1
	s_delay_alu instid0(VALU_DEP_2) | instskip(NEXT) | instid1(VALU_DEP_3)
	v_cndmask_b32_e64 v10, v21, v10, s4
	v_alignbit_b32 v18, v7, v11, 30
	s_delay_alu instid0(VALU_DEP_3) | instskip(NEXT) | instid1(VALU_DEP_3)
	v_sub_nc_u32_e32 v19, 0, v16
	v_alignbit_b32 v20, v17, v10, v20
	s_delay_alu instid0(VALU_DEP_1) | instskip(NEXT) | instid1(VALU_DEP_1)
	v_dual_cndmask_b32 v17, v20, v17, vcc_lo :: v_dual_bitop2_b32 v18, v18, v19 bitop3:0x14
	v_clz_i32_u32_e32 v20, v18
	s_delay_alu instid0(VALU_DEP_2) | instskip(SKIP_1) | instid1(VALU_DEP_3)
	v_alignbit_b32 v11, v11, v17, 30
	v_alignbit_b32 v10, v17, v10, 30
	v_min_u32_e32 v20, 32, v20
	s_delay_alu instid0(VALU_DEP_3) | instskip(NEXT) | instid1(VALU_DEP_3)
	v_xor_b32_e32 v11, v11, v19
	v_xor_b32_e32 v10, v10, v19
	v_dual_lshrrev_b32 v19, 29, v7 :: v_dual_lshrrev_b32 v7, 30, v7
	s_delay_alu instid0(VALU_DEP_4) | instskip(NEXT) | instid1(VALU_DEP_2)
	v_dual_sub_nc_u32 v17, 31, v20 :: v_dual_lshlrev_b32 v21, 23, v20
	v_add_nc_u32_e32 v16, v16, v7
	s_delay_alu instid0(VALU_DEP_2) | instskip(SKIP_2) | instid1(VALU_DEP_2)
	v_alignbit_b32 v18, v18, v11, v17
	v_alignbit_b32 v10, v11, v10, v17
	v_lshlrev_b32_e32 v11, 31, v19
	v_alignbit_b32 v17, v18, v10, 9
	s_delay_alu instid0(VALU_DEP_2) | instskip(SKIP_1) | instid1(VALU_DEP_3)
	v_dual_lshrrev_b32 v18, 9, v18 :: v_dual_bitop2_b32 v19, 0.5, v11 bitop3:0x54
	v_or_b32_e32 v11, 0x33000000, v11
	v_clz_i32_u32_e32 v22, v17
	s_delay_alu instid0(VALU_DEP_3) | instskip(NEXT) | instid1(VALU_DEP_2)
	v_sub_nc_u32_e32 v19, v19, v21
	v_min_u32_e32 v21, 32, v22
	s_delay_alu instid0(VALU_DEP_1) | instskip(NEXT) | instid1(VALU_DEP_3)
	v_add_lshl_u32 v20, v21, v20, 23
	v_or_b32_e32 v18, v18, v19
	v_not_b32_e32 v19, v21
	s_delay_alu instid0(VALU_DEP_2) | instskip(NEXT) | instid1(VALU_DEP_2)
	v_dual_mul_f32 v22, 0x3fc90fda, v18 :: v_dual_sub_nc_u32 v11, v11, v20
	v_alignbit_b32 v10, v17, v10, v19
	s_delay_alu instid0(VALU_DEP_2) | instskip(NEXT) | instid1(VALU_DEP_2)
	v_fma_f32 v17, 0x3fc90fda, v18, -v22
	v_lshrrev_b32_e32 v10, 9, v10
	s_delay_alu instid0(VALU_DEP_2) | instskip(NEXT) | instid1(VALU_DEP_2)
	v_fmac_f32_e32 v17, 0x33a22168, v18
	v_or_b32_e32 v10, v11, v10
	s_delay_alu instid0(VALU_DEP_1) | instskip(NEXT) | instid1(VALU_DEP_1)
	v_fmac_f32_e32 v17, 0x3fc90fda, v10
	v_add_f32_e32 v10, v22, v17
.LBB7_12:                               ;   in Loop: Header=BB7_2 Depth=1
	s_or_saveexec_b32 s3, s33
	v_mul_f32_e64 v7, 0x3f22f983, |v6|
	s_delay_alu instid0(VALU_DEP_1)
	v_rndne_f32_e32 v7, v7
	s_xor_b32 exec_lo, exec_lo, s3
; %bb.13:                               ;   in Loop: Header=BB7_2 Depth=1
	s_delay_alu instid0(VALU_DEP_1) | instskip(SKIP_1) | instid1(VALU_DEP_2)
	v_fma_f32 v10, 0xbfc90fda, v7, |v6|
	v_cvt_i32_f32_e32 v16, v7
	v_fmac_f32_e32 v10, 0xb3a22168, v7
	s_delay_alu instid0(VALU_DEP_1)
	v_fmac_f32_e32 v10, 0xa7c234c4, v7
; %bb.14:                               ;   in Loop: Header=BB7_2 Depth=1
	s_or_b32 exec_lo, exec_lo, s3
                                        ; implicit-def: $vgpr19
                                        ; implicit-def: $vgpr17
	s_and_saveexec_b32 s3, s15
	s_delay_alu instid0(SALU_CYCLE_1)
	s_xor_b32 s15, exec_lo, s3
	s_cbranch_execz .LBB7_16
; %bb.15:                               ;   in Loop: Header=BB7_2 Depth=1
	v_mul_u64_e32 v[18:19], s[8:9], v[14:15]
	v_mov_b32_e32 v21, v15
	v_cmp_lt_u32_e32 vcc_lo, 63, v3
	v_cndmask_b32_e64 v7, 0, 0xffffffc0, vcc_lo
	s_delay_alu instid0(VALU_DEP_4) | instskip(NEXT) | instid1(VALU_DEP_1)
	v_mov_b32_e32 v20, v19
	v_mad_nc_u64_u32 v[20:21], 0x3c439041, v14, v[20:21]
	s_delay_alu instid0(VALU_DEP_1) | instskip(NEXT) | instid1(VALU_DEP_1)
	v_dual_mov_b32 v23, v15 :: v_dual_mov_b32 v22, v21
	v_mad_nc_u64_u32 v[22:23], 0xdb629599, v14, v[22:23]
	s_delay_alu instid0(VALU_DEP_1) | instskip(NEXT) | instid1(VALU_DEP_2)
	v_dual_mov_b32 v25, v15 :: v_dual_mov_b32 v24, v23
	v_cndmask_b32_e32 v18, v22, v18, vcc_lo
	s_delay_alu instid0(VALU_DEP_2) | instskip(NEXT) | instid1(VALU_DEP_1)
	v_mad_nc_u64_u32 v[24:25], 0xf534ddc0, v14, v[24:25]
	v_dual_mov_b32 v27, v15 :: v_dual_mov_b32 v26, v25
	s_delay_alu instid0(VALU_DEP_1) | instskip(NEXT) | instid1(VALU_DEP_1)
	v_mad_nc_u64_u32 v[26:27], 0xfc2757d1, v14, v[26:27]
	v_dual_mov_b32 v29, v15 :: v_dual_mov_b32 v28, v27
	s_delay_alu instid0(VALU_DEP_2) | instskip(NEXT) | instid1(VALU_DEP_2)
	v_cndmask_b32_e32 v19, v26, v22, vcc_lo
	v_mad_nc_u64_u32 v[28:29], 0x4e441529, v14, v[28:29]
	v_add_nc_u32_e32 v3, v7, v3
	s_delay_alu instid0(VALU_DEP_2) | instskip(NEXT) | instid1(VALU_DEP_3)
	v_dual_mov_b32 v31, v15 :: v_dual_cndmask_b32 v11, v28, v24, vcc_lo
	v_mov_b32_e32 v30, v29
	s_delay_alu instid0(VALU_DEP_3) | instskip(NEXT) | instid1(VALU_DEP_2)
	v_cmp_lt_u32_e64 s3, 31, v3
	v_mad_nc_u64_u32 v[30:31], 0xa2f9836e, v14, v[30:31]
	s_delay_alu instid0(VALU_DEP_2) | instskip(NEXT) | instid1(VALU_DEP_1)
	v_cndmask_b32_e64 v7, 0, 0xffffffe0, s3
	v_dual_cndmask_b32 v14, v30, v26 :: v_dual_add_nc_u32 v3, v7, v3
	s_delay_alu instid0(VALU_DEP_1) | instskip(NEXT) | instid1(VALU_DEP_4)
	v_cmp_lt_u32_e64 s4, 31, v3
	v_cndmask_b32_e32 v17, v31, v28, vcc_lo
	s_delay_alu instid0(VALU_DEP_2) | instskip(NEXT) | instid1(VALU_DEP_1)
	v_cndmask_b32_e64 v7, 0, 0xffffffe0, s4
	v_dual_add_nc_u32 v3, v7, v3 :: v_dual_cndmask_b32 v7, v24, v20, vcc_lo
	s_delay_alu instid0(VALU_DEP_3) | instskip(SKIP_1) | instid1(VALU_DEP_3)
	v_dual_cndmask_b32 v20, v14, v11, s3 :: v_dual_cndmask_b32 v14, v17, v14, s3
	v_cndmask_b32_e64 v11, v11, v19, s3
	v_sub_nc_u32_e32 v17, 32, v3
	v_cmp_eq_u32_e32 vcc_lo, 0, v3
	s_delay_alu instid0(VALU_DEP_3) | instskip(NEXT) | instid1(VALU_DEP_1)
	v_dual_cndmask_b32 v14, v14, v20, s4 :: v_dual_cndmask_b32 v20, v20, v11, s4
	v_alignbit_b32 v21, v14, v20, v17
	v_cndmask_b32_e64 v19, v19, v7, s3
	v_cndmask_b32_e64 v7, v7, v18, s3
	s_delay_alu instid0(VALU_DEP_2) | instskip(NEXT) | instid1(VALU_DEP_1)
	v_dual_cndmask_b32 v3, v21, v14, vcc_lo :: v_dual_cndmask_b32 v11, v11, v19, s4
	v_bfe_u32 v18, v3, 29, 1
	s_delay_alu instid0(VALU_DEP_2) | instskip(NEXT) | instid1(VALU_DEP_1)
	v_alignbit_b32 v22, v20, v11, v17
	v_dual_cndmask_b32 v7, v19, v7, s4 :: v_dual_cndmask_b32 v14, v22, v20, vcc_lo
	s_delay_alu instid0(VALU_DEP_3) | instskip(NEXT) | instid1(VALU_DEP_2)
	v_sub_nc_u32_e32 v20, 0, v18
	v_alignbit_b32 v17, v11, v7, v17
	s_delay_alu instid0(VALU_DEP_3) | instskip(NEXT) | instid1(VALU_DEP_1)
	v_alignbit_b32 v19, v3, v14, 30
	v_dual_cndmask_b32 v11, v17, v11, vcc_lo :: v_dual_bitop2_b32 v19, v19, v20 bitop3:0x14
	s_delay_alu instid0(VALU_DEP_1) | instskip(SKIP_1) | instid1(VALU_DEP_3)
	v_alignbit_b32 v14, v14, v11, 30
	v_alignbit_b32 v7, v11, v7, 30
	v_clz_i32_u32_e32 v17, v19
	s_delay_alu instid0(VALU_DEP_2) | instskip(NEXT) | instid1(VALU_DEP_2)
	v_xor_b32_e32 v7, v7, v20
	v_min_u32_e32 v17, 32, v17
	v_dual_lshrrev_b32 v20, 29, v3 :: v_dual_bitop2_b32 v11, v14, v20 bitop3:0x14
	s_delay_alu instid0(VALU_DEP_2) | instskip(SKIP_1) | instid1(VALU_DEP_2)
	v_dual_lshrrev_b32 v3, 30, v3 :: v_dual_sub_nc_u32 v14, 31, v17
	v_lshlrev_b32_e32 v21, 23, v17
	v_alignbit_b32 v19, v19, v11, v14
	v_alignbit_b32 v7, v11, v7, v14
	v_lshlrev_b32_e32 v11, 31, v20
	s_delay_alu instid0(VALU_DEP_2) | instskip(NEXT) | instid1(VALU_DEP_2)
	v_alignbit_b32 v14, v19, v7, 9
	v_or_b32_e32 v20, 0.5, v11
	v_lshrrev_b32_e32 v19, 9, v19
	v_or_b32_e32 v11, 0x33000000, v11
	s_delay_alu instid0(VALU_DEP_4) | instskip(NEXT) | instid1(VALU_DEP_4)
	v_clz_i32_u32_e32 v22, v14
	v_sub_nc_u32_e32 v20, v20, v21
	s_delay_alu instid0(VALU_DEP_2) | instskip(NEXT) | instid1(VALU_DEP_2)
	v_min_u32_e32 v21, 32, v22
	v_or_b32_e32 v19, v19, v20
	s_delay_alu instid0(VALU_DEP_2) | instskip(SKIP_1) | instid1(VALU_DEP_2)
	v_not_b32_e32 v20, v21
	v_add_lshl_u32 v17, v21, v17, 23
	v_alignbit_b32 v7, v14, v7, v20
	s_delay_alu instid0(VALU_DEP_1) | instskip(SKIP_1) | instid1(VALU_DEP_2)
	v_dual_sub_nc_u32 v11, v11, v17 :: v_dual_lshrrev_b32 v7, 9, v7
	v_mul_f32_e32 v22, 0x3fc90fda, v19
	v_or_b32_e32 v7, v11, v7
	s_delay_alu instid0(VALU_DEP_2) | instskip(NEXT) | instid1(VALU_DEP_1)
	v_fma_f32 v14, 0x3fc90fda, v19, -v22
	v_fmac_f32_e32 v14, 0x33a22168, v19
	v_add_nc_u32_e32 v19, v18, v3
	s_delay_alu instid0(VALU_DEP_2) | instskip(NEXT) | instid1(VALU_DEP_1)
	v_fmac_f32_e32 v14, 0x3fc90fda, v7
                                        ; implicit-def: $vgpr7
	v_add_f32_e32 v17, v22, v14
	s_and_not1_saveexec_b32 s3, s15
	s_cbranch_execnz .LBB7_17
	s_branch .LBB7_18
.LBB7_16:                               ;   in Loop: Header=BB7_2 Depth=1
	s_and_not1_saveexec_b32 s3, s15
.LBB7_17:                               ;   in Loop: Header=BB7_2 Depth=1
	v_fma_f32 v17, 0xbfc90fda, v7, |v6|
	v_cvt_i32_f32_e32 v19, v7
	s_delay_alu instid0(VALU_DEP_2) | instskip(NEXT) | instid1(VALU_DEP_1)
	v_fmac_f32_e32 v17, 0xb3a22168, v7
	v_fmac_f32_e32 v17, 0xa7c234c4, v7
.LBB7_18:                               ;   in Loop: Header=BB7_2 Depth=1
	s_or_b32 exec_lo, exec_lo, s3
	v_add_nc_u64_e32 v[20:21], s[24:25], v[12:13]
                                        ; implicit-def: $vgpr22
	global_load_b32 v18, v[20:21], off
                                        ; implicit-def: $vgpr21
	s_wait_loadcnt 0x0
	s_wait_xcnt 0x0
	v_and_b32_e32 v20, 0x7fffffff, v18
	v_cmp_ngt_f32_e64 s15, 0x48000000, |v18|
	s_delay_alu instid0(VALU_DEP_2) | instskip(SKIP_1) | instid1(VALU_DEP_2)
	v_lshrrev_b32_e32 v3, 23, v20
	v_and_or_b32 v14, v20, s5, 0x800000
	v_add_nc_u32_e32 v3, 0xffffff88, v3
	s_and_saveexec_b32 s3, s15
	s_delay_alu instid0(SALU_CYCLE_1)
	s_xor_b32 s33, exec_lo, s3
	s_cbranch_execz .LBB7_20
; %bb.19:                               ;   in Loop: Header=BB7_2 Depth=1
	v_mul_u64_e32 v[22:23], s[8:9], v[14:15]
	v_mov_b32_e32 v25, v15
	v_cmp_lt_u32_e32 vcc_lo, 63, v3
	v_cndmask_b32_e64 v7, 0, 0xffffffc0, vcc_lo
	s_delay_alu instid0(VALU_DEP_4) | instskip(NEXT) | instid1(VALU_DEP_1)
	v_mov_b32_e32 v24, v23
	v_mad_nc_u64_u32 v[24:25], 0x3c439041, v14, v[24:25]
	s_delay_alu instid0(VALU_DEP_1) | instskip(NEXT) | instid1(VALU_DEP_1)
	v_dual_mov_b32 v27, v15 :: v_dual_mov_b32 v26, v25
	v_mad_nc_u64_u32 v[26:27], 0xdb629599, v14, v[26:27]
	s_delay_alu instid0(VALU_DEP_1) | instskip(NEXT) | instid1(VALU_DEP_2)
	v_dual_mov_b32 v29, v15 :: v_dual_mov_b32 v28, v27
	v_cndmask_b32_e32 v22, v26, v22, vcc_lo
	s_delay_alu instid0(VALU_DEP_2) | instskip(NEXT) | instid1(VALU_DEP_1)
	v_mad_nc_u64_u32 v[28:29], 0xf534ddc0, v14, v[28:29]
	v_dual_mov_b32 v31, v15 :: v_dual_mov_b32 v30, v29
	s_delay_alu instid0(VALU_DEP_1) | instskip(NEXT) | instid1(VALU_DEP_1)
	v_mad_nc_u64_u32 v[30:31], 0xfc2757d1, v14, v[30:31]
	v_dual_mov_b32 v33, v15 :: v_dual_mov_b32 v32, v31
	s_delay_alu instid0(VALU_DEP_2) | instskip(NEXT) | instid1(VALU_DEP_2)
	v_cndmask_b32_e32 v27, v30, v26, vcc_lo
	v_mad_nc_u64_u32 v[32:33], 0x4e441529, v14, v[32:33]
	v_add_nc_u32_e32 v7, v7, v3
	s_delay_alu instid0(VALU_DEP_2) | instskip(NEXT) | instid1(VALU_DEP_3)
	v_dual_mov_b32 v35, v15 :: v_dual_cndmask_b32 v21, v32, v28, vcc_lo
	v_mov_b32_e32 v34, v33
	s_delay_alu instid0(VALU_DEP_3) | instskip(NEXT) | instid1(VALU_DEP_2)
	v_cmp_lt_u32_e64 s3, 31, v7
	v_mad_nc_u64_u32 v[34:35], 0xa2f9836e, v14, v[34:35]
	s_delay_alu instid0(VALU_DEP_2) | instskip(NEXT) | instid1(VALU_DEP_1)
	v_cndmask_b32_e64 v11, 0, 0xffffffe0, s3
	v_dual_add_nc_u32 v7, v11, v7 :: v_dual_cndmask_b32 v23, v34, v30, vcc_lo
	s_delay_alu instid0(VALU_DEP_1) | instskip(NEXT) | instid1(VALU_DEP_4)
	v_cmp_lt_u32_e64 s4, 31, v7
	v_cndmask_b32_e32 v25, v35, v32, vcc_lo
	s_delay_alu instid0(VALU_DEP_2) | instskip(NEXT) | instid1(VALU_DEP_1)
	v_cndmask_b32_e64 v11, 0, 0xffffffe0, s4
	v_dual_add_nc_u32 v7, v11, v7 :: v_dual_cndmask_b32 v11, v28, v24, vcc_lo
	s_delay_alu instid0(VALU_DEP_3) | instskip(SKIP_1) | instid1(VALU_DEP_3)
	v_dual_cndmask_b32 v24, v23, v21, s3 :: v_dual_cndmask_b32 v23, v25, v23, s3
	v_cndmask_b32_e64 v21, v21, v27, s3
	v_sub_nc_u32_e32 v25, 32, v7
	s_delay_alu instid0(VALU_DEP_4) | instskip(SKIP_1) | instid1(VALU_DEP_4)
	v_cndmask_b32_e64 v27, v27, v11, s3
	v_cmp_eq_u32_e32 vcc_lo, 0, v7
	v_dual_cndmask_b32 v23, v23, v24, s4 :: v_dual_cndmask_b32 v24, v24, v21, s4
	s_delay_alu instid0(VALU_DEP_3) | instskip(NEXT) | instid1(VALU_DEP_2)
	v_dual_cndmask_b32 v11, v11, v22, s3 :: v_dual_cndmask_b32 v21, v21, v27, s4
	v_alignbit_b32 v28, v23, v24, v25
	s_delay_alu instid0(VALU_DEP_2) | instskip(NEXT) | instid1(VALU_DEP_1)
	v_alignbit_b32 v26, v24, v21, v25
	v_dual_cndmask_b32 v7, v28, v23 :: v_dual_cndmask_b32 v22, v26, v24
	s_delay_alu instid0(VALU_DEP_1) | instskip(NEXT) | instid1(VALU_DEP_2)
	v_bfe_u32 v23, v7, 29, 1
	v_alignbit_b32 v24, v7, v22, 30
	s_delay_alu instid0(VALU_DEP_2) | instskip(NEXT) | instid1(VALU_DEP_1)
	v_sub_nc_u32_e32 v26, 0, v23
	v_dual_cndmask_b32 v11, v27, v11, s4 :: v_dual_bitop2_b32 v24, v24, v26 bitop3:0x14
	s_delay_alu instid0(VALU_DEP_1) | instskip(NEXT) | instid1(VALU_DEP_1)
	v_alignbit_b32 v25, v21, v11, v25
	v_cndmask_b32_e32 v21, v25, v21, vcc_lo
	s_delay_alu instid0(VALU_DEP_3) | instskip(NEXT) | instid1(VALU_DEP_2)
	v_clz_i32_u32_e32 v25, v24
	v_alignbit_b32 v22, v22, v21, 30
	s_delay_alu instid0(VALU_DEP_2) | instskip(SKIP_1) | instid1(VALU_DEP_2)
	v_min_u32_e32 v25, 32, v25
	v_alignbit_b32 v11, v21, v11, 30
	v_dual_sub_nc_u32 v22, 31, v25 :: v_dual_bitop2_b32 v21, v22, v26 bitop3:0x14
	s_delay_alu instid0(VALU_DEP_2) | instskip(SKIP_1) | instid1(VALU_DEP_3)
	v_dual_lshrrev_b32 v26, 29, v7 :: v_dual_bitop2_b32 v11, v11, v26 bitop3:0x14
	v_dual_lshlrev_b32 v27, 23, v25 :: v_dual_lshrrev_b32 v7, 30, v7
	v_alignbit_b32 v24, v24, v21, v22
	s_delay_alu instid0(VALU_DEP_3) | instskip(NEXT) | instid1(VALU_DEP_4)
	v_alignbit_b32 v11, v21, v11, v22
	v_lshlrev_b32_e32 v21, 31, v26
	s_delay_alu instid0(VALU_DEP_2) | instskip(NEXT) | instid1(VALU_DEP_2)
	v_alignbit_b32 v22, v24, v11, 9
	v_dual_lshrrev_b32 v24, 9, v24 :: v_dual_bitop2_b32 v26, 0.5, v21 bitop3:0x54
	v_or_b32_e32 v21, 0x33000000, v21
	s_delay_alu instid0(VALU_DEP_3) | instskip(NEXT) | instid1(VALU_DEP_3)
	v_clz_i32_u32_e32 v28, v22
	v_sub_nc_u32_e32 v26, v26, v27
	s_delay_alu instid0(VALU_DEP_2) | instskip(NEXT) | instid1(VALU_DEP_1)
	v_min_u32_e32 v27, 32, v28
	v_add_lshl_u32 v25, v27, v25, 23
	s_delay_alu instid0(VALU_DEP_1) | instskip(SKIP_1) | instid1(VALU_DEP_1)
	v_dual_sub_nc_u32 v21, v21, v25 :: v_dual_bitop2_b32 v24, v24, v26 bitop3:0x54
	v_not_b32_e32 v26, v27
	v_alignbit_b32 v11, v22, v11, v26
	s_delay_alu instid0(VALU_DEP_1) | instskip(NEXT) | instid1(VALU_DEP_1)
	v_dual_mul_f32 v28, 0x3fc90fda, v24 :: v_dual_lshrrev_b32 v11, 9, v11
	v_or_b32_e32 v11, v21, v11
	s_delay_alu instid0(VALU_DEP_2) | instskip(NEXT) | instid1(VALU_DEP_1)
	v_fma_f32 v22, 0x3fc90fda, v24, -v28
	v_fmac_f32_e32 v22, 0x33a22168, v24
	s_delay_alu instid0(VALU_DEP_1) | instskip(NEXT) | instid1(VALU_DEP_1)
	v_fmac_f32_e32 v22, 0x3fc90fda, v11
	v_dual_add_f32 v21, v28, v22 :: v_dual_add_nc_u32 v22, v23, v7
.LBB7_20:                               ;   in Loop: Header=BB7_2 Depth=1
	s_or_saveexec_b32 s3, s33
	v_mul_f32_e64 v7, 0x3f22f983, |v18|
	s_delay_alu instid0(VALU_DEP_1)
	v_rndne_f32_e32 v7, v7
	s_xor_b32 exec_lo, exec_lo, s3
; %bb.21:                               ;   in Loop: Header=BB7_2 Depth=1
	s_delay_alu instid0(VALU_DEP_1) | instskip(SKIP_1) | instid1(VALU_DEP_2)
	v_fma_f32 v21, 0xbfc90fda, v7, |v18|
	v_cvt_i32_f32_e32 v22, v7
	v_fmac_f32_e32 v21, 0xb3a22168, v7
	s_delay_alu instid0(VALU_DEP_1)
	v_fmac_f32_e32 v21, 0xa7c234c4, v7
; %bb.22:                               ;   in Loop: Header=BB7_2 Depth=1
	s_or_b32 exec_lo, exec_lo, s3
                                        ; implicit-def: $vgpr24
                                        ; implicit-def: $vgpr23
	s_and_saveexec_b32 s3, s15
	s_delay_alu instid0(SALU_CYCLE_1)
	s_xor_b32 s15, exec_lo, s3
	s_cbranch_execz .LBB7_24
; %bb.23:                               ;   in Loop: Header=BB7_2 Depth=1
	v_mul_u64_e32 v[24:25], s[8:9], v[14:15]
	v_mov_b32_e32 v27, v15
	v_cmp_lt_u32_e32 vcc_lo, 63, v3
	v_cndmask_b32_e64 v7, 0, 0xffffffc0, vcc_lo
	s_delay_alu instid0(VALU_DEP_4) | instskip(NEXT) | instid1(VALU_DEP_1)
	v_mov_b32_e32 v26, v25
	v_mad_nc_u64_u32 v[26:27], 0x3c439041, v14, v[26:27]
	s_delay_alu instid0(VALU_DEP_1) | instskip(NEXT) | instid1(VALU_DEP_1)
	v_dual_mov_b32 v29, v15 :: v_dual_mov_b32 v28, v27
	v_mad_nc_u64_u32 v[28:29], 0xdb629599, v14, v[28:29]
	s_delay_alu instid0(VALU_DEP_1) | instskip(NEXT) | instid1(VALU_DEP_1)
	v_dual_mov_b32 v31, v15 :: v_dual_mov_b32 v30, v29
	;; [unrolled: 3-line block ×3, first 2 shown]
	v_mad_nc_u64_u32 v[32:33], 0xfc2757d1, v14, v[32:33]
	s_delay_alu instid0(VALU_DEP_1) | instskip(NEXT) | instid1(VALU_DEP_2)
	v_dual_mov_b32 v35, v15 :: v_dual_mov_b32 v34, v33
	v_cndmask_b32_e32 v25, v32, v28, vcc_lo
	s_delay_alu instid0(VALU_DEP_2) | instskip(SKIP_1) | instid1(VALU_DEP_2)
	v_mad_nc_u64_u32 v[34:35], 0x4e441529, v14, v[34:35]
	v_add_nc_u32_e32 v3, v7, v3
	v_dual_mov_b32 v37, v15 :: v_dual_mov_b32 v36, v35
	s_delay_alu instid0(VALU_DEP_3) | instskip(NEXT) | instid1(VALU_DEP_3)
	v_cndmask_b32_e32 v11, v34, v30, vcc_lo
	v_cmp_lt_u32_e64 s3, 31, v3
	s_delay_alu instid0(VALU_DEP_3) | instskip(NEXT) | instid1(VALU_DEP_2)
	v_mad_nc_u64_u32 v[36:37], 0xa2f9836e, v14, v[36:37]
	v_cndmask_b32_e64 v7, 0, 0xffffffe0, s3
	s_delay_alu instid0(VALU_DEP_1) | instskip(NEXT) | instid1(VALU_DEP_1)
	v_dual_cndmask_b32 v14, v36, v32 :: v_dual_add_nc_u32 v3, v7, v3
	v_cmp_lt_u32_e64 s4, 31, v3
	s_delay_alu instid0(VALU_DEP_4) | instskip(NEXT) | instid1(VALU_DEP_2)
	v_cndmask_b32_e32 v23, v37, v34, vcc_lo
	v_cndmask_b32_e64 v7, 0, 0xffffffe0, s4
	s_delay_alu instid0(VALU_DEP_1) | instskip(NEXT) | instid1(VALU_DEP_3)
	v_dual_add_nc_u32 v3, v7, v3 :: v_dual_cndmask_b32 v7, v30, v26, vcc_lo
	v_dual_cndmask_b32 v26, v14, v11, s3 :: v_dual_cndmask_b32 v14, v23, v14, s3
	s_delay_alu instid0(VALU_DEP_2) | instskip(NEXT) | instid1(VALU_DEP_2)
	v_dual_cndmask_b32 v11, v11, v25, s3 :: v_dual_sub_nc_u32 v23, 32, v3
	v_dual_cndmask_b32 v25, v25, v7, s3 :: v_dual_cndmask_b32 v14, v14, v26, s4
	s_delay_alu instid0(VALU_DEP_1) | instskip(NEXT) | instid1(VALU_DEP_1)
	v_dual_cndmask_b32 v26, v26, v11, s4 :: v_dual_cndmask_b32 v11, v11, v25, s4
	v_alignbit_b32 v27, v14, v26, v23
	v_cndmask_b32_e32 v24, v28, v24, vcc_lo
	v_cmp_eq_u32_e32 vcc_lo, 0, v3
	s_delay_alu instid0(VALU_DEP_4) | instskip(NEXT) | instid1(VALU_DEP_4)
	v_alignbit_b32 v28, v26, v11, v23
	v_cndmask_b32_e32 v3, v27, v14, vcc_lo
	s_delay_alu instid0(VALU_DEP_2) | instskip(NEXT) | instid1(VALU_DEP_2)
	v_dual_cndmask_b32 v7, v7, v24, s3 :: v_dual_cndmask_b32 v14, v28, v26, vcc_lo
	v_bfe_u32 v24, v3, 29, 1
	s_delay_alu instid0(VALU_DEP_2) | instskip(NEXT) | instid1(VALU_DEP_3)
	v_cndmask_b32_e64 v7, v25, v7, s4
	v_alignbit_b32 v25, v3, v14, 30
	s_delay_alu instid0(VALU_DEP_3) | instskip(NEXT) | instid1(VALU_DEP_3)
	v_sub_nc_u32_e32 v26, 0, v24
	v_alignbit_b32 v23, v11, v7, v23
	s_delay_alu instid0(VALU_DEP_1) | instskip(NEXT) | instid1(VALU_DEP_1)
	v_dual_cndmask_b32 v11, v23, v11, vcc_lo :: v_dual_bitop2_b32 v25, v25, v26 bitop3:0x14
	v_clz_i32_u32_e32 v23, v25
	s_delay_alu instid0(VALU_DEP_2) | instskip(SKIP_1) | instid1(VALU_DEP_3)
	v_alignbit_b32 v14, v14, v11, 30
	v_alignbit_b32 v7, v11, v7, 30
	v_min_u32_e32 v23, 32, v23
	s_delay_alu instid0(VALU_DEP_3) | instskip(NEXT) | instid1(VALU_DEP_3)
	v_xor_b32_e32 v11, v14, v26
	v_dual_lshrrev_b32 v26, 29, v3 :: v_dual_bitop2_b32 v7, v7, v26 bitop3:0x14
	v_lshrrev_b32_e32 v3, 30, v3
	s_delay_alu instid0(VALU_DEP_4) | instskip(NEXT) | instid1(VALU_DEP_2)
	v_dual_sub_nc_u32 v14, 31, v23 :: v_dual_lshlrev_b32 v27, 23, v23
	v_add_nc_u32_e32 v24, v24, v3
	s_delay_alu instid0(VALU_DEP_2) | instskip(SKIP_2) | instid1(VALU_DEP_2)
	v_alignbit_b32 v25, v25, v11, v14
	v_alignbit_b32 v7, v11, v7, v14
	v_lshlrev_b32_e32 v11, 31, v26
	v_alignbit_b32 v14, v25, v7, 9
	s_delay_alu instid0(VALU_DEP_2) | instskip(SKIP_1) | instid1(VALU_DEP_3)
	v_dual_lshrrev_b32 v25, 9, v25 :: v_dual_bitop2_b32 v26, 0.5, v11 bitop3:0x54
	v_or_b32_e32 v11, 0x33000000, v11
	v_clz_i32_u32_e32 v28, v14
	s_delay_alu instid0(VALU_DEP_3) | instskip(NEXT) | instid1(VALU_DEP_2)
	v_sub_nc_u32_e32 v26, v26, v27
	v_min_u32_e32 v27, 32, v28
	s_delay_alu instid0(VALU_DEP_1) | instskip(NEXT) | instid1(VALU_DEP_3)
	v_add_lshl_u32 v23, v27, v23, 23
	v_or_b32_e32 v25, v25, v26
	v_not_b32_e32 v26, v27
	s_delay_alu instid0(VALU_DEP_3) | instskip(NEXT) | instid1(VALU_DEP_2)
	v_sub_nc_u32_e32 v11, v11, v23
	v_alignbit_b32 v7, v14, v7, v26
	s_delay_alu instid0(VALU_DEP_1) | instskip(NEXT) | instid1(VALU_DEP_1)
	v_dual_mul_f32 v28, 0x3fc90fda, v25 :: v_dual_lshrrev_b32 v7, 9, v7
	v_fma_f32 v14, 0x3fc90fda, v25, -v28
	s_delay_alu instid0(VALU_DEP_2) | instskip(NEXT) | instid1(VALU_DEP_2)
	v_or_b32_e32 v7, v11, v7
	v_fmac_f32_e32 v14, 0x33a22168, v25
	s_delay_alu instid0(VALU_DEP_1) | instskip(NEXT) | instid1(VALU_DEP_1)
	v_fmac_f32_e32 v14, 0x3fc90fda, v7
                                        ; implicit-def: $vgpr7
	v_add_f32_e32 v23, v28, v14
	s_and_not1_saveexec_b32 s3, s15
	s_cbranch_execz .LBB7_1
	s_branch .LBB7_25
.LBB7_24:                               ;   in Loop: Header=BB7_2 Depth=1
	s_and_not1_saveexec_b32 s3, s15
	s_cbranch_execz .LBB7_1
.LBB7_25:                               ;   in Loop: Header=BB7_2 Depth=1
	v_fma_f32 v23, 0xbfc90fda, v7, |v18|
	v_cvt_i32_f32_e32 v24, v7
	s_delay_alu instid0(VALU_DEP_2) | instskip(NEXT) | instid1(VALU_DEP_1)
	v_fmac_f32_e32 v23, 0xb3a22168, v7
	v_fmac_f32_e32 v23, 0xa7c234c4, v7
	s_branch .LBB7_1
.LBB7_26:
	s_clause 0x1
	s_load_b64 s[4:5], s[0:1], 0x0
	s_load_b128 s[20:23], s[0:1], 0x48
	s_movk_i32 s15, 0x1a18
	s_mov_b32 s26, 0
	s_mov_b32 s14, 0x42340000
	s_wait_kmcnt 0x0
	s_max_i32 s27, s5, 1
	s_max_i32 s28, s4, 1
.LBB7_27:                               ; =>This Loop Header: Depth=1
                                        ;     Child Loop BB7_28 Depth 2
                                        ;     Child Loop BB7_30 Depth 2
                                        ;       Child Loop BB7_31 Depth 3
	v_mov_b32_e32 v0, s26
	s_mov_b32 s0, s15
	s_mov_b32 s1, 0
	global_load_b128 v[4:7], v0, s[18:19] scale_offset
	s_wait_loadcnt 0x0
	global_load_b128 v[0:3], v7, s[22:23] scale_offset
	v_dual_mov_b32 v28, v4 :: v_dual_mov_b32 v29, v4
	s_wait_xcnt 0x0
	v_dual_mov_b32 v4, v5 :: v_dual_mov_b32 v7, v6
.LBB7_28:                               ;   Parent Loop BB7_27 Depth=1
                                        ; =>  This Inner Loop Header: Depth=2
	s_add_co_i32 s3, s1, 0x200
	s_addk_co_i32 s1, 0xc0
	s_clause 0xb
	scratch_load_b128 v[8:11], off, s3
	scratch_load_b128 v[12:15], off, s3 offset:48
	scratch_load_b128 v[16:19], off, s3 offset:16
	;; [unrolled: 1-line block ×11, first 2 shown]
	s_wait_loadcnt 0xa
	v_dual_mov_b32 v58, v11 :: v_dual_mov_b32 v59, v15
	v_dual_mov_b32 v60, v8 :: v_dual_mov_b32 v61, v12
	v_dual_mov_b32 v12, v9 :: v_dual_mov_b32 v11, v14
	s_wait_loadcnt 0x8
	v_dual_mov_b32 v8, v19 :: v_dual_mov_b32 v9, v23
	v_dual_mov_b32 v14, v16 :: v_dual_mov_b32 v15, v20
	v_dual_mov_b32 v20, v17 :: v_dual_mov_b32 v19, v22
	;; [unrolled: 4-line block ×3, first 2 shown]
	s_wait_loadcnt 0x4
	v_dual_mov_b32 v24, v37 :: v_dual_mov_b32 v25, v41
	v_dual_mov_b32 v32, v34 :: v_dual_mov_b32 v33, v38
	s_wait_loadcnt 0x3
	v_dual_mov_b32 v38, v35 :: v_dual_mov_b32 v34, v45
	s_wait_loadcnt 0x2
	v_dual_mov_b32 v35, v49 :: v_dual_mov_b32 v62, v42
	v_dual_mov_b32 v63, v46 :: v_dual_mov_b32 v37, v40
	s_wait_loadcnt 0x0
	v_dual_mov_b32 v40, v53 :: v_dual_mov_b32 v41, v57
	v_dual_mov_b32 v64, v50 :: v_dual_mov_b32 v65, v54
	;; [unrolled: 1-line block ×3, first 2 shown]
	v_pk_fma_f32 v[42:43], v[28:29], v[60:61], v[58:59]
	v_pk_fma_f32 v[8:9], v[28:29], v[14:15], v[8:9]
	;; [unrolled: 1-line block ×5, first 2 shown]
	v_dual_mov_b32 v54, v51 :: v_dual_mov_b32 v53, v56
	v_pk_fma_f32 v[24:25], v[28:29], v[64:65], v[40:41]
	v_pk_fma_f32 v[12:13], v[4:5], v[12:13], v[42:43]
	;; [unrolled: 1-line block ×13, first 2 shown]
	v_dual_mov_b32 v8, v10 :: v_dual_mov_b32 v9, v24
	v_dual_mov_b32 v10, v12 :: v_dual_mov_b32 v12, v25
	s_delay_alu instid0(VALU_DEP_4) | instskip(NEXT) | instid1(VALU_DEP_4)
	v_dual_mov_b32 v14, v16 :: v_dual_mov_b32 v15, v20
	v_dual_mov_b32 v16, v18 :: v_dual_mov_b32 v18, v21
	s_clause 0x2
	scratch_store_b128 off, v[8:11], s0 offset:-24
	scratch_store_b128 off, v[12:15], s0 offset:-8
	scratch_store_b128 off, v[16:19], s0 offset:8
	s_wait_xcnt 0x0
	s_add_co_i32 s0, s0, 48
	s_cmp_lg_u32 s1, 0x1800
	s_cbranch_scc1 .LBB7_28
; %bb.29:                               ;   in Loop: Header=BB7_27 Depth=1
	v_cmp_gt_f32_e64 s0, 0, v2
	v_cmp_lt_f32_e64 s1, 0, v2
	v_cmp_eq_u32_e64 s3, 0x46, v0
	v_cmp_eq_u32_e64 s4, 0x45, v0
	s_mov_b32 s31, 0
	s_and_b32 s5, s0, exec_lo
	s_cselect_b32 s29, 0x40b00000, 1.0
	s_cselect_b32 s30, 1.0, 0xff7fffff
.LBB7_30:                               ;   Parent Loop BB7_27 Depth=1
                                        ; =>  This Loop Header: Depth=2
                                        ;       Child Loop BB7_31 Depth 3
	v_mov_b32_e32 v0, s31
	s_mov_b32 s38, 8
	s_mov_b32 s39, 0
	global_load_b128 v[4:7], v0, s[16:17] scale_offset
	s_wait_xcnt 0x0
	v_xor_b32_e32 v0, 0x80000000, v2
	s_wait_loadcnt 0x0
	global_load_b128 v[8:11], v7, s[22:23] scale_offset
	v_dual_mov_b32 v12, v4 :: v_dual_mov_b32 v13, v4
	s_wait_xcnt 0x0
	v_dual_mov_b32 v4, v5 :: v_dual_mov_b32 v7, v6
	s_wait_loadcnt 0x0
	v_cmp_eq_u32_e32 vcc_lo, 0x45, v8
	v_readfirstlane_b32 s9, v10
	v_add_f32_e32 v14, v1, v9
	s_or_b32 s5, vcc_lo, s4
	s_cmp_lt_f32 s9, 0
	s_delay_alu instid0(VALU_DEP_1)
	v_div_scale_f32 v10, null, v14, v14, 1.0
	s_cselect_b32 s7, -1, 0
	v_rcp_f32_e32 v19, v10
	s_and_b32 s6, s7, exec_lo
	s_cselect_b32 s33, s29, s30
	v_nop
	v_xor_b32_e32 v10, 0x80000000, v10
	v_div_scale_f32 v9, null, s33, s33, 1.0
	v_div_scale_f32 v20, vcc_lo, 1.0, s33, 1.0
	s_delay_alu instid0(VALU_DEP_3) | instskip(NEXT) | instid1(VALU_DEP_3)
	v_fma_f32 v17, v10, v19, 1.0
	v_rcp_f32_e32 v18, v9
	v_nop
	v_xor_b32_e32 v9, 0x80000000, v9
	s_and_b32 s7, s7, s1
	s_xor_b32 s8, s9, 0x80000000
	s_and_b32 s7, s7, exec_lo
	v_cmp_eq_u32_e64 s7, 0x46, v8
	s_cselect_b32 s10, s8, s9
	v_fma_f32 v15, v9, v18, 1.0
	s_cmp_gt_f32 s9, 0
	s_mov_b32 s37, s33
	s_delay_alu instid0(VALU_DEP_1) | instskip(SKIP_2) | instid1(VALU_DEP_3)
	v_dual_fmac_f32 v19, v17, v19 :: v_dual_fmac_f32 v18, v15, v18
	v_mul_f32_e32 v16, v3, v11
	v_div_scale_f32 v11, s6, 1.0, v14, 1.0
	v_dual_mov_b32 v15, v14 :: v_dual_mul_f32 v21, v20, v18
	s_cselect_b32 s8, -1, 0
	s_delay_alu instid0(VALU_DEP_2) | instskip(SKIP_1) | instid1(SALU_CYCLE_1)
	v_mul_f32_e32 v22, v11, v19
	s_and_b32 s8, s8, s0
	v_dual_mov_b32 v17, v16 :: v_dual_cndmask_b32 v0, v2, v0, s8
	s_delay_alu instid0(VALU_DEP_2) | instskip(SKIP_1) | instid1(VALU_DEP_1)
	v_dual_fma_f32 v8, v9, v21, v20 :: v_dual_fma_f32 v23, v10, v22, v11
	s_cmp_neq_f32 s9, 0
	v_dual_fmac_f32 v21, v8, v18 :: v_dual_fmac_f32 v22, v23, v19
	s_cselect_b32 s34, -1, 0
	s_and_b32 s7, s7, s3
	s_delay_alu instid0(VALU_DEP_1) | instskip(NEXT) | instid1(VALU_DEP_1)
	v_dual_fmac_f32 v20, v9, v21 :: v_dual_fmac_f32 v11, v10, v22
	v_div_fmas_f32 v8, v20, v18, v21
	s_mov_b32 vcc_lo, s6
	s_and_b32 s6, s7, exec_lo
	s_delay_alu instid0(VALU_DEP_2)
	v_div_fmas_f32 v9, v11, v19, v22
	s_cselect_b32 s35, 4.0, 2.0
	v_div_fixup_f32 v20, v8, s33, 1.0
	v_add_f32_e32 v18, s10, v0
	s_cselect_b32 s24, 0x3e800000, 0.5
	v_div_fixup_f32 v22, v9, v14, 1.0
	s_mov_b32 s36, s35
	s_delay_alu instid0(VALU_DEP_2) | instskip(SKIP_1) | instid1(VALU_DEP_2)
	v_dual_mov_b32 v21, v20 :: v_dual_mov_b32 v19, v18
	s_mov_b32 s25, s24
	v_mov_b32_e32 v23, v22
.LBB7_31:                               ;   Parent Loop BB7_27 Depth=1
                                        ;     Parent Loop BB7_30 Depth=2
                                        ; =>    This Inner Loop Header: Depth=3
	s_add_co_i32 s6, s39, 0x1a00
	v_mov_b64_e32 v[24:25], s[24:25]
	s_clause 0x2
	scratch_load_b128 v[26:29], off, s6
	scratch_load_b128 v[30:33], off, s6 offset:16
	scratch_load_b128 v[34:37], off, s6 offset:32
	scratch_load_b128 v[8:11], off, s38 offset:-8
	s_add_co_i32 s39, s39, 48
	s_mov_b32 s40, s38
	s_wait_xcnt 0x0
	s_add_co_i32 s38, s38, 16
	s_wait_loadcnt 0x3
	v_dual_mov_b32 v38, v26 :: v_dual_mov_b32 v39, v29
	s_wait_loadcnt 0x2
	v_dual_mov_b32 v26, v27 :: v_dual_mov_b32 v27, v30
	v_dual_mov_b32 v29, v31 :: v_dual_mov_b32 v30, v32
	s_wait_loadcnt 0x1
	v_dual_mov_b32 v31, v35 :: v_dual_mov_b32 v32, v33
	v_dual_mov_b32 v33, v36 :: v_dual_mov_b32 v35, v37
	v_pk_add_f32 v[26:27], v[26:27], v[4:5] neg_lo:[0,1] neg_hi:[0,1]
	v_pk_add_f32 v[36:37], v[38:39], v[12:13] neg_lo:[0,1] neg_hi:[0,1]
	v_pk_add_f32 v[28:29], v[28:29], v[6:7] neg_lo:[0,1] neg_hi:[0,1]
	s_delay_alu instid0(VALU_DEP_4) | instskip(SKIP_3) | instid1(VALU_DEP_4)
	v_pk_add_f32 v[32:33], v[32:33], v[4:5] neg_lo:[0,1] neg_hi:[0,1]
	v_pk_add_f32 v[30:31], v[30:31], v[12:13] neg_lo:[0,1] neg_hi:[0,1]
	v_pk_mul_f32 v[26:27], v[26:27], v[26:27]
	v_pk_add_f32 v[34:35], v[34:35], v[6:7] neg_lo:[0,1] neg_hi:[0,1]
	v_pk_mul_f32 v[32:33], v[32:33], v[32:33]
	s_delay_alu instid0(VALU_DEP_3) | instskip(NEXT) | instid1(VALU_DEP_2)
	v_pk_fma_f32 v[26:27], v[36:37], v[36:37], v[26:27]
	v_pk_fma_f32 v[30:31], v[30:31], v[30:31], v[32:33]
	s_delay_alu instid0(VALU_DEP_2) | instskip(NEXT) | instid1(VALU_DEP_2)
	v_pk_fma_f32 v[26:27], v[28:29], v[28:29], v[26:27]
	v_pk_fma_f32 v[28:29], v[34:35], v[34:35], v[30:31]
	s_delay_alu instid0(VALU_DEP_2) | instskip(SKIP_1) | instid1(VALU_DEP_4)
	v_mul_f32_e32 v0, 0x4f800000, v27
	v_cmp_gt_f32_e64 s8, 0xf800000, v27
	v_cmp_gt_f32_e32 vcc_lo, 0xf800000, v26
	s_delay_alu instid0(VALU_DEP_4) | instskip(SKIP_3) | instid1(VALU_DEP_1)
	v_mul_f32_e32 v31, 0x4f800000, v29
	v_cmp_gt_f32_e64 s6, 0xf800000, v29
	v_cmp_gt_f32_e64 s7, 0xf800000, v28
	v_cndmask_b32_e64 v0, v27, v0, s8
	v_sqrt_f32_e32 v27, v0
	v_nop
	s_delay_alu instid0(TRANS32_DEP_1) | instskip(NEXT) | instid1(VALU_DEP_1)
	v_dual_mul_f32 v30, 0x4f800000, v26 :: v_dual_add_nc_u32 v33, -1, v27
	v_cndmask_b32_e32 v26, v26, v30, vcc_lo
	s_delay_alu instid0(VALU_DEP_1) | instskip(SKIP_1) | instid1(TRANS32_DEP_1)
	v_sqrt_f32_e32 v30, v26
	v_mul_f32_e32 v32, 0x4f800000, v28
	v_dual_add_nc_u32 v34, 1, v27 :: v_dual_add_nc_u32 v36, 1, v30
	v_dual_add_nc_u32 v35, -1, v30 :: v_dual_cndmask_b32 v29, v29, v31, s6
	s_delay_alu instid0(VALU_DEP_3) | instskip(NEXT) | instid1(VALU_DEP_2)
	v_dual_cndmask_b32 v28, v28, v32, s7 :: v_dual_fma_f32 v41, -v33, v27, v0
	v_dual_fma_f32 v42, -v34, v27, v0 :: v_dual_fma_f32 v43, -v35, v30, v26
	s_delay_alu instid0(VALU_DEP_4) | instskip(NEXT) | instid1(VALU_DEP_4)
	v_fma_f32 v44, -v36, v30, v26
	v_sqrt_f32_e32 v31, v29
	s_delay_alu instid0(VALU_DEP_3) | instskip(SKIP_2) | instid1(TRANS32_DEP_2)
	v_sqrt_f32_e32 v32, v28
	v_cmp_ge_f32_e64 s9, 0, v41
	v_cmp_lt_f32_e64 s12, 0, v42
	v_dual_add_nc_u32 v37, -1, v31 :: v_dual_add_nc_u32 v38, 1, v31
	s_delay_alu instid0(TRANS32_DEP_1) | instskip(NEXT) | instid1(VALU_DEP_2)
	v_dual_add_nc_u32 v39, -1, v32 :: v_dual_add_nc_u32 v40, 1, v32
	v_dual_cndmask_b32 v27, v27, v33, s9 :: v_dual_fma_f32 v45, -v37, v31, v29
	s_delay_alu instid0(VALU_DEP_2) | instskip(NEXT) | instid1(VALU_DEP_3)
	v_dual_fma_f32 v46, -v38, v31, v29 :: v_dual_fma_f32 v47, -v39, v32, v28
	v_fma_f32 v48, -v40, v32, v28
	v_cmp_ge_f32_e64 s9, 0, v43
	s_delay_alu instid0(VALU_DEP_4) | instskip(NEXT) | instid1(VALU_DEP_4)
	v_cmp_ge_f32_e64 s10, 0, v45
	v_cmp_ge_f32_e64 s11, 0, v47
	s_delay_alu instid0(VALU_DEP_3) | instskip(SKIP_1) | instid1(VALU_DEP_3)
	v_cndmask_b32_e64 v30, v30, v35, s9
	v_cmp_lt_f32_e64 s9, 0, v44
	v_dual_cndmask_b32 v31, v31, v37, s10 :: v_dual_cndmask_b32 v32, v32, v39, s11
	v_cmp_lt_f32_e64 s10, 0, v46
	v_cmp_lt_f32_e64 s11, 0, v48
	s_delay_alu instid0(VALU_DEP_4) | instskip(NEXT) | instid1(VALU_DEP_2)
	v_dual_cndmask_b32 v27, v27, v34, s12 :: v_dual_cndmask_b32 v30, v30, v36, s9
	v_dual_cndmask_b32 v31, v31, v38, s10 :: v_dual_cndmask_b32 v32, v32, v40, s11
	s_delay_alu instid0(VALU_DEP_2) | instskip(NEXT) | instid1(VALU_DEP_2)
	v_dual_mul_f32 v33, 0x37800000, v27 :: v_dual_mul_f32 v34, 0x37800000, v30
	v_dual_mul_f32 v35, 0x37800000, v31 :: v_dual_mul_f32 v36, 0x37800000, v32
	s_delay_alu instid0(VALU_DEP_2) | instskip(SKIP_1) | instid1(VALU_DEP_3)
	v_dual_cndmask_b32 v27, v27, v33, s8 :: v_dual_cndmask_b32 v30, v30, v34, vcc_lo
	v_cmp_class_f32_e64 vcc_lo, v26, 0x260
	v_dual_cndmask_b32 v31, v31, v35, s6 :: v_dual_cndmask_b32 v32, v32, v36, s7
	v_cmp_class_f32_e64 s6, v29, 0x260
	v_cmp_class_f32_e64 s7, v28, 0x260
	;; [unrolled: 1-line block ×3, first 2 shown]
	s_delay_alu instid0(VALU_DEP_3) | instskip(NEXT) | instid1(VALU_DEP_3)
	v_dual_cndmask_b32 v26, v30, v26, vcc_lo :: v_dual_cndmask_b32 v29, v31, v29, s6
	v_cndmask_b32_e64 v28, v32, v28, s7
	s_delay_alu instid0(VALU_DEP_3) | instskip(NEXT) | instid1(VALU_DEP_2)
	v_cndmask_b32_e64 v27, v27, v0, s8
	v_pk_add_f32 v[32:33], v[28:29], v[14:15] neg_lo:[0,1] neg_hi:[0,1]
	s_delay_alu instid0(VALU_DEP_2) | instskip(SKIP_2) | instid1(VALU_DEP_4)
	v_pk_add_f32 v[30:31], v[26:27], v[14:15] neg_lo:[0,1] neg_hi:[0,1]
	v_pk_fma_f32 v[26:27], v[22:23], v[26:27], 1.0 op_sel_hi:[1,1,0] neg_lo:[1,0,0] neg_hi:[1,0,0]
	v_pk_fma_f32 v[28:29], v[22:23], v[28:29], 1.0 op_sel_hi:[1,1,0] neg_lo:[1,0,0] neg_hi:[1,0,0]
	v_cmp_gt_f32_e64 s11, s36, v33
	s_delay_alu instid0(VALU_DEP_4)
	v_cmp_gt_f32_e32 vcc_lo, 0, v31
	v_cmp_gt_f32_e64 s6, 0, v30
	v_cmp_gt_f32_e64 s7, s36, v31
	v_pk_fma_f32 v[36:37], v[24:25], v[30:31], 1.0 op_sel_hi:[1,1,0] neg_lo:[1,0,0] neg_hi:[1,0,0]
	v_cmp_gt_f32_e64 s9, 0, v33
	v_cndmask_b32_e64 v35, 0, 0x42980000, vcc_lo
	v_cndmask_b32_e64 v34, 0, 0x42980000, s6
	v_cndmask_b32_e64 v39, 0, 1.0, s7
	v_cmp_gt_f32_e64 s7, s35, v30
	v_cmp_gt_f32_e64 s10, 0, v32
	v_pk_fma_f32 v[24:25], v[24:25], v[32:33], 1.0 op_sel_hi:[1,1,0] neg_lo:[1,0,0] neg_hi:[1,0,0]
	v_cndmask_b32_e64 v43, 0, 1.0, s11
	v_cmp_gt_f32_e64 s11, s35, v32
	v_cndmask_b32_e64 v38, 0, 1.0, s7
	s_wait_loadcnt 0x0
	v_pk_fma_f32 v[8:9], v[26:27], v[34:35], v[8:9]
	v_cndmask_b32_e64 v27, v37, 1.0, vcc_lo
	v_cndmask_b32_e64 v26, v36, 1.0, s6
	v_cndmask_b32_e64 v42, 0, 1.0, s11
	;; [unrolled: 1-line block ×4, first 2 shown]
	v_pk_fma_f32 v[40:41], v[20:21], v[30:31], 1.0 op_sel_hi:[1,1,0] neg_lo:[1,0,0] neg_hi:[1,0,0]
	v_pk_mul_f32 v[26:27], v[38:39], v[26:27]
	v_cmp_gt_f32_e64 s7, s37, v31
	v_cmp_gt_f32_e64 s8, s33, v30
	v_pk_mul_f32 v[24:25], v[42:43], v[24:25]
	v_cndmask_b32_e64 v31, 0, 0x42980000, s9
	v_cndmask_b32_e64 v30, 0, 0x42980000, s10
	v_pk_mul_f32 v[26:27], v[16:17], v[26:27]
	v_cmp_gt_f32_e64 s11, s37, v33
	v_pk_mul_f32 v[24:25], v[16:17], v[24:25]
	v_cmp_gt_f32_e64 s12, s33, v32
	v_pk_fma_f32 v[10:11], v[28:29], v[30:31], v[10:11]
	v_and_b32_e32 v31, 0x7fffffff, v27
	v_and_b32_e32 v30, 0x7fffffff, v26
	;; [unrolled: 1-line block ×4, first 2 shown]
	s_and_b32 s7, s34, s7
	v_pk_fma_f32 v[44:45], v[20:21], v[32:33], 1.0 op_sel_hi:[1,1,0] neg_lo:[1,0,0] neg_hi:[1,0,0]
	v_pk_add_f32 v[30:31], v[30:31], 0 neg_lo:[1,1] neg_hi:[1,1]
	v_cndmask_b32_e64 v33, 0, 1.0, s7
	v_pk_add_f32 v[36:37], v[36:37], 0 neg_lo:[1,1] neg_hi:[1,1]
	s_and_b32 s7, s34, s8
	v_cndmask_b32_e64 v34, v40, 1.0, s6
	v_cndmask_b32_e64 v32, 0, 1.0, s7
	s_and_b32 s6, s34, s12
	s_and_b32 s7, s34, s11
	v_cndmask_b32_e64 v28, 0, 1.0, s6
	v_cndmask_b32_e64 v29, 0, 1.0, s7
	v_dual_cndmask_b32 v27, v27, v31, s5 :: v_dual_cndmask_b32 v26, v26, v30, s5
	v_dual_cndmask_b32 v25, v25, v37, s5 :: v_dual_cndmask_b32 v24, v24, v36, s5
	v_cndmask_b32_e64 v35, v41, 1.0, vcc_lo
	v_cndmask_b32_e64 v39, v45, 1.0, s9
	v_cndmask_b32_e64 v38, v44, 1.0, s10
	v_pk_mul_f32 v[30:31], v[18:19], v[32:33]
	v_pk_mul_f32 v[28:29], v[18:19], v[28:29]
	v_pk_fma_f32 v[8:9], v[26:27], s[14:15], v[8:9] op_sel_hi:[1,0,1]
	v_pk_fma_f32 v[10:11], v[24:25], s[14:15], v[10:11] op_sel_hi:[1,0,1]
	s_cmp_lg_u32 s39, 0x600
	s_delay_alu instid0(VALU_DEP_2) | instskip(NEXT) | instid1(VALU_DEP_2)
	v_pk_fma_f32 v[8:9], v[34:35], v[30:31], v[8:9]
	v_pk_fma_f32 v[10:11], v[38:39], v[28:29], v[10:11]
	scratch_store_b128 off, v[8:11], s40 offset:-8
	s_cbranch_scc1 .LBB7_31
; %bb.32:                               ;   in Loop: Header=BB7_30 Depth=2
	s_add_co_i32 s31, s31, 1
	s_delay_alu instid0(SALU_CYCLE_1)
	s_cmp_lg_u32 s31, s27
	s_cbranch_scc1 .LBB7_30
; %bb.33:                               ;   in Loop: Header=BB7_27 Depth=1
	s_add_co_i32 s26, s26, 1
	s_delay_alu instid0(SALU_CYCLE_1)
	s_cmp_lg_u32 s26, s28
	s_cbranch_scc1 .LBB7_27
; %bb.34:
	s_wait_xcnt 0x0
	s_and_saveexec_b32 s0, s2
	s_cbranch_execz .LBB7_36
; %bb.35:
	s_clause 0x15
	scratch_load_b128 v[0:3], off, off
	scratch_load_b128 v[4:7], off, off offset:16
	scratch_load_b128 v[8:11], off, off offset:32
	scratch_load_b128 v[12:15], off, off offset:48
	scratch_load_b128 v[16:19], off, off offset:64
	scratch_load_b128 v[20:23], off, off offset:80
	scratch_load_b128 v[24:27], off, off offset:96
	scratch_load_b128 v[28:31], off, off offset:112
	scratch_load_b128 v[32:35], off, off offset:128
	scratch_load_b128 v[36:39], off, off offset:144
	scratch_load_b128 v[40:43], off, off offset:160
	scratch_load_b128 v[44:47], off, off offset:176
	scratch_load_b128 v[48:51], off, off offset:192
	scratch_load_b128 v[52:55], off, off offset:208
	scratch_load_b128 v[56:59], off, off offset:224
	scratch_load_b128 v[60:63], off, off offset:240
	scratch_load_b128 v[64:67], off, off offset:256
	scratch_load_b128 v[68:71], off, off offset:272
	scratch_load_b128 v[88:91], off, off offset:288
	scratch_load_b128 v[92:95], off, off offset:304
	scratch_load_b128 v[96:99], off, off offset:320
	scratch_load_b128 v[100:103], off, off offset:336
	s_wait_loadcnt 0x15
	v_dual_mul_f32 v0, 0.5, v0 :: v_dual_mul_f32 v1, 0.5, v1
	v_dual_mul_f32 v2, 0.5, v2 :: v_dual_mul_f32 v3, 0.5, v3
	s_wait_loadcnt 0x11
	v_dual_mul_f32 v87, 0.5, v16 :: v_dual_mul_f32 v104, 0.5, v17
	s_wait_loadcnt 0x10
	;; [unrolled: 2-line block ×3, first 2 shown]
	v_dual_mul_f32 v17, 0.5, v34 :: v_dual_mul_f32 v22, 0.5, v35
	v_add_nc_u32_e32 v35, s13, v72
	v_dual_mul_f32 v109, 0.5, v24 :: v_dual_mul_f32 v110, 0.5, v25
	v_dual_mul_f32 v111, 0.5, v26 :: v_dual_mul_f32 v27, 0.5, v27
	s_wait_loadcnt 0xc
	v_dual_mul_f32 v26, 0.5, v38 :: v_dual_mul_f32 v24, 0.5, v39
	s_wait_loadcnt 0x6
	v_dual_mul_f32 v74, 0.5, v62 :: v_dual_add_nc_u32 v39, s13, v35
	s_wait_loadcnt 0x5
	v_dual_mul_f32 v73, 0.5, v63 :: v_dual_mul_f32 v63, 0.5, v64
	s_delay_alu instid0(VALU_DEP_2)
	v_dual_mul_f32 v62, 0.5, v65 :: v_dual_add_nc_u32 v64, s13, v39
	s_clause 0x1
	global_store_b32 v72, v0, s[20:21] scale_offset
	global_store_b32 v35, v1, s[20:21] scale_offset
	v_dual_mul_f32 v4, 0.5, v4 :: v_dual_mul_f32 v5, 0.5, v5
	s_wait_xcnt 0x1
	v_add_nc_u32_e32 v0, s13, v64
	s_clause 0x1
	global_store_b32 v39, v2, s[20:21] scale_offset
	global_store_b32 v64, v3, s[20:21] scale_offset
	v_dual_mul_f32 v6, 0.5, v6 :: v_dual_mul_f32 v7, 0.5, v7
	v_add_nc_u32_e32 v65, s13, v0
	global_store_b32 v0, v4, s[20:21] scale_offset
	v_dual_mul_f32 v8, 0.5, v8 :: v_dual_mul_f32 v9, 0.5, v9
	v_dual_mul_f32 v10, 0.5, v10 :: v_dual_mul_f32 v11, 0.5, v11
	s_wait_xcnt 0x3
	v_dual_mul_f32 v76, 0.5, v60 :: v_dual_add_nc_u32 v1, s13, v65
	v_dual_mul_f32 v75, 0.5, v61 :: v_dual_mul_f32 v61, 0.5, v66
	s_delay_alu instid0(VALU_DEP_2)
	v_dual_mul_f32 v60, 0.5, v67 :: v_dual_add_nc_u32 v35, s13, v1
	global_store_b32 v65, v5, s[20:21] scale_offset
	v_dual_mul_f32 v12, 0.5, v12 :: v_dual_mul_f32 v13, 0.5, v13
	v_dual_mul_f32 v78, 0.5, v58 :: v_dual_mul_f32 v77, 0.5, v59
	s_wait_xcnt 0x3
	v_add_nc_u32_e32 v2, s13, v35
	s_clause 0x1
	global_store_b32 v1, v6, s[20:21] scale_offset
	global_store_b32 v35, v7, s[20:21] scale_offset
	s_wait_loadcnt 0x4
	v_dual_mul_f32 v59, 0.5, v68 :: v_dual_mul_f32 v58, 0.5, v69
	v_add_nc_u32_e32 v39, s13, v2
	global_store_b32 v2, v8, s[20:21] scale_offset
	v_dual_mul_f32 v14, 0.5, v14 :: v_dual_mul_f32 v15, 0.5, v15
	v_dual_mul_f32 v80, 0.5, v56 :: v_dual_mul_f32 v79, 0.5, v57
	s_wait_xcnt 0x5
	v_dual_add_nc_u32 v3, s13, v39 :: v_dual_mul_f32 v57, 0.5, v70
	v_dual_mul_f32 v84, 0.5, v52 :: v_dual_mul_f32 v83, 0.5, v53
	v_mul_f32_e32 v53, 0.5, v71
	s_delay_alu instid0(VALU_DEP_3)
	v_add_nc_u32_e32 v64, s13, v3
	global_store_b32 v39, v9, s[20:21] scale_offset
	v_dual_mul_f32 v82, 0.5, v54 :: v_dual_mul_f32 v81, 0.5, v55
	s_wait_loadcnt 0x3
	v_dual_mul_f32 v54, 0.5, v88 :: v_dual_mul_f32 v55, 0.5, v89
	s_wait_xcnt 0x5
	v_add_nc_u32_e32 v0, s13, v64
	s_clause 0x1
	global_store_b32 v3, v10, s[20:21] scale_offset
	global_store_b32 v64, v11, s[20:21] scale_offset
	v_mul_f32_e32 v56, 0.5, v90
	v_dual_mul_f32 v105, 0.5, v18 :: v_dual_mul_f32 v19, 0.5, v19
	v_add_nc_u32_e32 v4, s13, v0
	global_store_b32 v0, v12, s[20:21] scale_offset
	v_dual_mul_f32 v106, 0.5, v20 :: v_dual_mul_f32 v107, 0.5, v21
	v_dual_mul_f32 v20, 0.5, v36 :: v_dual_mul_f32 v21, 0.5, v37
	s_wait_xcnt 0x7
	v_add_nc_u32_e32 v5, s13, v4
	v_dual_mul_f32 v36, 0.5, v48 :: v_dual_mul_f32 v37, 0.5, v49
	v_dual_mul_f32 v49, 0.5, v91 :: v_dual_mul_f32 v86, 0.5, v50
	s_delay_alu instid0(VALU_DEP_3)
	v_dual_mul_f32 v85, 0.5, v51 :: v_dual_add_nc_u32 v65, s13, v5
	global_store_b32 v4, v13, s[20:21] scale_offset
	s_wait_loadcnt 0x2
	v_dual_mul_f32 v50, 0.5, v92 :: v_dual_mul_f32 v51, 0.5, v93
	s_wait_xcnt 0x7
	v_dual_mul_f32 v52, 0.5, v94 :: v_dual_add_nc_u32 v1, s13, v65
	s_clause 0x1
	global_store_b32 v5, v14, s[20:21] scale_offset
	global_store_b32 v65, v15, s[20:21] scale_offset
	v_dual_mul_f32 v112, 0.5, v28 :: v_dual_mul_f32 v113, 0.5, v29
	v_add_nc_u32_e32 v6, s13, v1
	global_store_b32 v1, v87, s[20:21] scale_offset
	v_dual_mul_f32 v34, 0.5, v44 :: v_dual_mul_f32 v44, 0.5, v95
	v_dual_mul_f32 v114, 0.5, v30 :: v_dual_mul_f32 v31, 0.5, v31
	s_wait_xcnt 0x9
	v_dual_mul_f32 v18, 0.5, v32 :: v_dual_add_nc_u32 v7, s13, v6
	v_dual_mul_f32 v16, 0.5, v33 :: v_dual_mul_f32 v25, 0.5, v40
	s_delay_alu instid0(VALU_DEP_2)
	v_dual_mul_f32 v30, 0.5, v41 :: v_dual_add_nc_u32 v35, s13, v7
	global_store_b32 v6, v104, s[20:21] scale_offset
	v_dual_mul_f32 v28, 0.5, v42 :: v_dual_mul_f32 v29, 0.5, v43
	s_wait_xcnt 0x9
	v_dual_mul_f32 v32, 0.5, v45 :: v_dual_add_nc_u32 v2, s13, v35
	s_clause 0x1
	global_store_b32 v7, v105, s[20:21] scale_offset
	global_store_b32 v35, v19, s[20:21] scale_offset
	v_dual_mul_f32 v33, 0.5, v46 :: v_dual_mul_f32 v38, 0.5, v47
	v_add_nc_u32_e32 v8, s13, v2
	global_store_b32 v2, v106, s[20:21] scale_offset
	s_wait_loadcnt 0x1
	v_dual_mul_f32 v45, 0.5, v96 :: v_dual_mul_f32 v46, 0.5, v97
	v_dual_mul_f32 v47, 0.5, v98 :: v_dual_mul_f32 v40, 0.5, v99
	s_wait_xcnt 0xb
	v_add_nc_u32_e32 v9, s13, v8
	s_wait_loadcnt 0x0
	v_dual_mul_f32 v41, 0.5, v100 :: v_dual_mul_f32 v43, 0.5, v101
	v_dual_mul_f32 v48, 0.5, v102 :: v_dual_mul_f32 v42, 0.5, v103
	s_delay_alu instid0(VALU_DEP_3) | instskip(SKIP_1) | instid1(VALU_DEP_1)
	v_add_nc_u32_e32 v39, s13, v9
	s_wait_xcnt 0xa
	v_add_nc_u32_e32 v10, s13, v39
	s_clause 0x1
	global_store_b32 v8, v107, s[20:21] scale_offset
	global_store_b32 v9, v108, s[20:21] scale_offset
	scratch_load_b128 v[0:3], off, off offset:352
	global_store_b32 v39, v23, s[20:21] scale_offset
	v_add_nc_u32_e32 v66, s13, v10
	s_delay_alu instid0(VALU_DEP_1) | instskip(NEXT) | instid1(VALU_DEP_1)
	v_add_nc_u32_e32 v11, s13, v66
	v_add_nc_u32_e32 v64, s13, v11
	s_clause 0x1
	global_store_b32 v10, v109, s[20:21] scale_offset
	global_store_b32 v66, v110, s[20:21] scale_offset
	scratch_load_b128 v[4:7], off, off offset:368
	v_add_nc_u32_e32 v12, s13, v64
	s_clause 0x2
	global_store_b32 v11, v111, s[20:21] scale_offset
	global_store_b32 v64, v27, s[20:21] scale_offset
	;; [unrolled: 1-line block ×3, first 2 shown]
	v_add_nc_u32_e32 v67, s13, v12
	scratch_load_b128 v[8:11], off, off offset:384
	v_add_nc_u32_e32 v13, s13, v67
	s_delay_alu instid0(VALU_DEP_1)
	v_add_nc_u32_e32 v68, s13, v13
	global_store_b32 v67, v113, s[20:21] scale_offset
	v_add_nc_u32_e32 v69, s13, v68
	s_clause 0x1
	global_store_b32 v13, v114, s[20:21] scale_offset
	global_store_b32 v68, v31, s[20:21] scale_offset
	scratch_load_b128 v[12:15], off, off offset:400
	v_add_nc_u32_e32 v70, s13, v69
	global_store_b32 v69, v18, s[20:21] scale_offset
	v_add_nc_u32_e32 v65, s13, v70
	s_delay_alu instid0(VALU_DEP_1) | instskip(NEXT) | instid1(VALU_DEP_1)
	v_add_nc_u32_e32 v71, s13, v65
	v_add_nc_u32_e32 v72, s13, v71
	s_delay_alu instid0(VALU_DEP_1)
	v_add_nc_u32_e32 v87, s13, v72
	s_clause 0x1
	global_store_b32 v70, v16, s[20:21] scale_offset
	global_store_b32 v65, v17, s[20:21] scale_offset
	scratch_load_b128 v[16:19], off, off offset:416
	v_add_nc_u32_e32 v88, s13, v87
	s_clause 0x2
	global_store_b32 v71, v22, s[20:21] scale_offset
	global_store_b32 v72, v20, s[20:21] scale_offset
	;; [unrolled: 1-line block ×3, first 2 shown]
	scratch_load_b128 v[20:23], off, off offset:432
	v_add_nc_u32_e32 v89, s13, v88
	global_store_b32 v88, v26, s[20:21] scale_offset
	v_add_nc_u32_e32 v90, s13, v89
	s_delay_alu instid0(VALU_DEP_1) | instskip(NEXT) | instid1(VALU_DEP_1)
	v_add_nc_u32_e32 v91, s13, v90
	v_add_nc_u32_e32 v35, s13, v91
	s_clause 0x1
	global_store_b32 v89, v24, s[20:21] scale_offset
	global_store_b32 v90, v25, s[20:21] scale_offset
	scratch_load_b128 v[24:27], off, off offset:448
	global_store_b32 v91, v30, s[20:21] scale_offset
	v_add_nc_u32_e32 v92, s13, v35
	s_delay_alu instid0(VALU_DEP_1) | instskip(NEXT) | instid1(VALU_DEP_1)
	v_add_nc_u32_e32 v93, s13, v92
	v_add_nc_u32_e32 v94, s13, v93
	s_clause 0x1
	global_store_b32 v35, v28, s[20:21] scale_offset
	global_store_b32 v92, v29, s[20:21] scale_offset
	scratch_load_b128 v[28:31], off, off offset:464
	v_add_nc_u32_e32 v39, s13, v94
	s_clause 0x2
	global_store_b32 v93, v34, s[20:21] scale_offset
	global_store_b32 v94, v32, s[20:21] scale_offset
	;; [unrolled: 1-line block ×3, first 2 shown]
	v_add_nc_u32_e32 v66, s13, v39
	scratch_load_b128 v[32:35], off, off offset:480
	v_add_nc_u32_e32 v95, s13, v66
	s_delay_alu instid0(VALU_DEP_1) | instskip(NEXT) | instid1(VALU_DEP_1)
	v_add_nc_u32_e32 v64, s13, v95
	v_add_nc_u32_e32 v67, s13, v64
	global_store_b32 v66, v38, s[20:21] scale_offset
	v_add_nc_u32_e32 v68, s13, v67
	s_delay_alu instid0(VALU_DEP_1)
	v_add_nc_u32_e32 v69, s13, v68
	s_clause 0x1
	global_store_b32 v95, v36, s[20:21] scale_offset
	global_store_b32 v64, v37, s[20:21] scale_offset
	scratch_load_b128 v[36:39], off, off offset:496
	s_clause 0x1
	global_store_b32 v67, v86, s[20:21] scale_offset
	global_store_b32 v68, v85, s[20:21] scale_offset
	v_add_nc_u32_e32 v65, s13, v69
	global_store_b32 v69, v84, s[20:21] scale_offset
	v_add_nc_u32_e32 v70, s13, v65
	s_delay_alu instid0(VALU_DEP_1)
	v_add_nc_u32_e32 v71, s13, v70
	global_store_b32 v65, v83, s[20:21] scale_offset
	v_add_nc_u32_e32 v72, s13, v71
	s_clause 0x1
	global_store_b32 v70, v82, s[20:21] scale_offset
	global_store_b32 v71, v81, s[20:21] scale_offset
	v_add_nc_u32_e32 v87, s13, v72
	global_store_b32 v72, v80, s[20:21] scale_offset
	v_add_nc_u32_e32 v88, s13, v87
	s_delay_alu instid0(VALU_DEP_1) | instskip(NEXT) | instid1(VALU_DEP_1)
	v_add_nc_u32_e32 v89, s13, v88
	v_add_nc_u32_e32 v90, s13, v89
	global_store_b32 v87, v79, s[20:21] scale_offset
	v_add_nc_u32_e32 v91, s13, v90
	global_store_b32 v88, v78, s[20:21] scale_offset
	v_add_nc_u32_e32 v66, s13, v91
	s_clause 0x2
	global_store_b32 v89, v77, s[20:21] scale_offset
	global_store_b32 v90, v76, s[20:21] scale_offset
	;; [unrolled: 1-line block ×3, first 2 shown]
	v_add_nc_u32_e32 v64, s13, v66
	global_store_b32 v66, v74, s[20:21] scale_offset
	s_wait_xcnt 0xc
	v_add_nc_u32_e32 v67, s13, v64
	s_delay_alu instid0(VALU_DEP_1)
	v_add_nc_u32_e32 v86, s13, v67
	global_store_b32 v64, v73, s[20:21] scale_offset
	s_wait_xcnt 0xc
	v_add_nc_u32_e32 v68, s13, v86
	s_clause 0x1
	global_store_b32 v67, v63, s[20:21] scale_offset
	global_store_b32 v86, v62, s[20:21] scale_offset
	v_add_nc_u32_e32 v85, s13, v68
	global_store_b32 v68, v61, s[20:21] scale_offset
	s_wait_xcnt 0xe
	v_add_nc_u32_e32 v69, s13, v85
	s_delay_alu instid0(VALU_DEP_1)
	v_add_nc_u32_e32 v84, s13, v69
	global_store_b32 v85, v60, s[20:21] scale_offset
	s_wait_xcnt 0xe
	v_add_nc_u32_e32 v65, s13, v84
	s_clause 0x1
	global_store_b32 v69, v59, s[20:21] scale_offset
	global_store_b32 v84, v58, s[20:21] scale_offset
	v_add_nc_u32_e32 v83, s13, v65
	global_store_b32 v65, v57, s[20:21] scale_offset
	s_wait_xcnt 0x10
	v_add_nc_u32_e32 v70, s13, v83
	s_delay_alu instid0(VALU_DEP_1) | instskip(SKIP_1) | instid1(VALU_DEP_1)
	v_add_nc_u32_e32 v82, s13, v70
	s_wait_xcnt 0xf
	v_add_nc_u32_e32 v71, s13, v82
	s_clause 0x3
	global_store_b32 v83, v53, s[20:21] scale_offset
	global_store_b32 v70, v54, s[20:21] scale_offset
	global_store_b32 v82, v55, s[20:21] scale_offset
	global_store_b32 v71, v56, s[20:21] scale_offset
	v_add_nc_u32_e32 v81, s13, v71
	s_wait_xcnt 0x12
	s_delay_alu instid0(VALU_DEP_1) | instskip(NEXT) | instid1(VALU_DEP_1)
	v_add_nc_u32_e32 v72, s13, v81
	v_add_nc_u32_e32 v80, s13, v72
	s_wait_xcnt 0x11
	s_delay_alu instid0(VALU_DEP_1)
	v_add_nc_u32_e32 v79, s13, v80
	s_clause 0x3
	global_store_b32 v81, v49, s[20:21] scale_offset
	global_store_b32 v72, v50, s[20:21] scale_offset
	global_store_b32 v80, v51, s[20:21] scale_offset
	global_store_b32 v79, v52, s[20:21] scale_offset
	v_add_nc_u32_e32 v87, s13, v79
	s_wait_xcnt 0x14
	s_delay_alu instid0(VALU_DEP_1) | instskip(NEXT) | instid1(VALU_DEP_1)
	v_add_nc_u32_e32 v78, s13, v87
	v_add_nc_u32_e32 v88, s13, v78
	s_wait_xcnt 0x13
	s_delay_alu instid0(VALU_DEP_1)
	;; [unrolled: 13-line block ×3, first 2 shown]
	v_add_nc_u32_e32 v75, s13, v90
	s_clause 0x3
	global_store_b32 v89, v40, s[20:21] scale_offset
	global_store_b32 v76, v41, s[20:21] scale_offset
	;; [unrolled: 1-line block ×4, first 2 shown]
	v_add_nc_u32_e32 v91, s13, v75
	s_wait_loadcnt 0x9
	s_wait_xcnt 0x18
	s_delay_alu instid0(VALU_DEP_1) | instskip(SKIP_1) | instid1(VALU_DEP_2)
	v_dual_add_nc_u32 v66, s13, v91 :: v_dual_mul_f32 v0, 0.5, v0
	v_mul_f32_e32 v2, 0.5, v2
	v_add_nc_u32_e32 v74, s13, v66
	global_store_b32 v91, v42, s[20:21] scale_offset
	s_wait_xcnt 0x18
	v_add_nc_u32_e32 v64, s13, v74
	s_delay_alu instid0(VALU_DEP_1) | instskip(SKIP_1) | instid1(VALU_DEP_1)
	v_add_nc_u32_e32 v73, s13, v64
	s_wait_xcnt 0x17
	v_add_nc_u32_e32 v63, s13, v73
	s_delay_alu instid0(VALU_DEP_1) | instskip(SKIP_1) | instid1(VALU_DEP_1)
	v_add_nc_u32_e32 v67, s13, v63
	;; [unrolled: 4-line block ×7, first 2 shown]
	s_wait_xcnt 0x11
	v_add_nc_u32_e32 v57, s13, v84
	s_wait_xcnt 0x10
	s_delay_alu instid0(VALU_DEP_1) | instskip(SKIP_1) | instid1(VALU_DEP_1)
	v_add_nc_u32_e32 v53, s13, v57
	s_wait_xcnt 0xc
	v_add_nc_u32_e32 v49, s13, v53
	s_wait_xcnt 0x8
	s_delay_alu instid0(VALU_DEP_1) | instskip(SKIP_1) | instid1(VALU_DEP_1)
	v_add_nc_u32_e32 v44, s13, v49
	s_wait_xcnt 0x4
	v_dual_mul_f32 v1, 0.5, v1 :: v_dual_add_nc_u32 v40, s13, v44
	s_wait_xcnt 0x3
	s_delay_alu instid0(VALU_DEP_1)
	v_add_nc_u32_e32 v41, s13, v40
	s_clause 0x2
	global_store_b32 v66, v0, s[20:21] scale_offset
	global_store_b32 v74, v1, s[20:21] scale_offset
	global_store_b32 v64, v2, s[20:21] scale_offset
	s_wait_loadcnt 0x8
	s_wait_xcnt 0x0
	v_dual_mul_f32 v0, 0.5, v3 :: v_dual_mul_f32 v2, 0.5, v4
	v_mul_f32_e32 v3, 0.5, v5
	v_dual_mul_f32 v4, 0.5, v6 :: v_dual_add_nc_u32 v1, s13, v41
	global_store_b32 v73, v0, s[20:21] scale_offset
	s_wait_loadcnt 0x7
	v_mul_f32_e32 v5, 0.5, v9
	s_wait_loadcnt 0x5
	v_mul_f32_e32 v9, 0.5, v17
	s_wait_xcnt 0x0
	v_add_nc_u32_e32 v0, s13, v1
	s_clause 0x2
	global_store_b32 v63, v2, s[20:21] scale_offset
	global_store_b32 v67, v3, s[20:21] scale_offset
	;; [unrolled: 1-line block ×3, first 2 shown]
	s_wait_xcnt 0x0
	v_dual_mul_f32 v2, 0.5, v7 :: v_dual_mul_f32 v4, 0.5, v8
	v_dual_mul_f32 v7, 0.5, v13 :: v_dual_add_nc_u32 v3, s13, v0
	v_mul_f32_e32 v6, 0.5, v10
	global_store_b32 v86, v2, s[20:21] scale_offset
	s_wait_loadcnt 0x3
	s_wait_xcnt 0x0
	v_dual_mul_f32 v13, 0.5, v26 :: v_dual_add_nc_u32 v2, s13, v3
	s_clause 0x2
	global_store_b32 v61, v4, s[20:21] scale_offset
	global_store_b32 v68, v5, s[20:21] scale_offset
	global_store_b32 v60, v6, s[20:21] scale_offset
	s_wait_xcnt 0x0
	v_dual_mul_f32 v4, 0.5, v11 :: v_dual_mul_f32 v6, 0.5, v12
	v_dual_mul_f32 v11, 0.5, v21 :: v_dual_add_nc_u32 v5, s13, v2
	v_mul_f32_e32 v8, 0.5, v14
	global_store_b32 v85, v4, s[20:21] scale_offset
	s_wait_xcnt 0x0
	v_add_nc_u32_e32 v4, s13, v5
	s_clause 0x2
	global_store_b32 v59, v6, s[20:21] scale_offset
	global_store_b32 v69, v7, s[20:21] scale_offset
	global_store_b32 v58, v8, s[20:21] scale_offset
	s_wait_xcnt 0x0
	v_dual_mul_f32 v6, 0.5, v15 :: v_dual_mul_f32 v8, 0.5, v16
	v_dual_mul_f32 v10, 0.5, v18 :: v_dual_add_nc_u32 v7, s13, v4
	global_store_b32 v84, v6, s[20:21] scale_offset
	s_wait_xcnt 0x0
	v_add_nc_u32_e32 v6, s13, v7
	s_clause 0x2
	global_store_b32 v57, v8, s[20:21] scale_offset
	global_store_b32 v53, v9, s[20:21] scale_offset
	global_store_b32 v49, v10, s[20:21] scale_offset
	s_wait_xcnt 0x0
	v_dual_mul_f32 v8, 0.5, v19 :: v_dual_mul_f32 v10, 0.5, v20
	v_add_nc_u32_e32 v9, s13, v6
	v_mul_f32_e32 v12, 0.5, v22
	global_store_b32 v44, v8, s[20:21] scale_offset
	s_wait_xcnt 0x0
	v_add_nc_u32_e32 v8, s13, v9
	s_clause 0x2
	global_store_b32 v40, v10, s[20:21] scale_offset
	global_store_b32 v41, v11, s[20:21] scale_offset
	;; [unrolled: 1-line block ×3, first 2 shown]
	s_wait_xcnt 0x0
	v_dual_mul_f32 v1, 0.5, v23 :: v_dual_mul_f32 v11, 0.5, v24
	v_dual_mul_f32 v12, 0.5, v25 :: v_dual_add_nc_u32 v10, s13, v8
	global_store_b32 v0, v1, s[20:21] scale_offset
	s_wait_xcnt 0x0
	v_mul_f32_e32 v1, 0.5, v27
	s_clause 0x2
	global_store_b32 v3, v11, s[20:21] scale_offset
	global_store_b32 v2, v12, s[20:21] scale_offset
	;; [unrolled: 1-line block ×3, first 2 shown]
	s_wait_loadcnt 0x2
	s_wait_xcnt 0x2
	v_dual_mul_f32 v3, 0.5, v28 :: v_dual_add_nc_u32 v0, s13, v10
	s_wait_xcnt 0x0
	v_mul_f32_e32 v5, 0.5, v29
	global_store_b32 v4, v1, s[20:21] scale_offset
	v_dual_mul_f32 v11, 0.5, v30 :: v_dual_add_nc_u32 v2, s13, v0
	s_clause 0x2
	global_store_b32 v7, v3, s[20:21] scale_offset
	global_store_b32 v6, v5, s[20:21] scale_offset
	;; [unrolled: 1-line block ×3, first 2 shown]
	s_wait_loadcnt 0x1
	s_wait_xcnt 0x1
	v_dual_mul_f32 v3, 0.5, v31 :: v_dual_mul_f32 v5, 0.5, v32
	v_add_nc_u32_e32 v1, s13, v2
	v_mul_f32_e32 v7, 0.5, v34
	global_store_b32 v8, v3, s[20:21] scale_offset
	s_wait_loadcnt 0x0
	v_dual_mul_f32 v8, 0.5, v39 :: v_dual_add_nc_u32 v4, s13, v1
	s_delay_alu instid0(VALU_DEP_1)
	v_dual_mul_f32 v6, 0.5, v33 :: v_dual_add_nc_u32 v3, s13, v4
	s_clause 0x2
	global_store_b32 v10, v5, s[20:21] scale_offset
	global_store_b32 v0, v6, s[20:21] scale_offset
	;; [unrolled: 1-line block ×3, first 2 shown]
	s_wait_xcnt 0x1
	v_dual_mul_f32 v0, 0.5, v35 :: v_dual_mul_f32 v5, 0.5, v36
	s_wait_xcnt 0x0
	v_dual_mul_f32 v6, 0.5, v37 :: v_dual_add_nc_u32 v2, s13, v3
	v_mul_f32_e32 v7, 0.5, v38
	s_delay_alu instid0(VALU_DEP_2)
	v_add_nc_u32_e32 v9, s13, v2
	s_clause 0x4
	global_store_b32 v1, v0, s[20:21] scale_offset
	global_store_b32 v4, v5, s[20:21] scale_offset
	;; [unrolled: 1-line block ×5, first 2 shown]
.LBB7_36:
	s_sendmsg sendmsg(MSG_DEALLOC_VGPRS)
	s_endpgm
	.section	.rodata,"a",@progbits
	.p2align	6, 0x0
	.amdhsa_kernel _ZL11fasten_mainILm128EEviiPK4AtomS2_PKfS4_S4_S4_S4_S4_PfPK8FFParamsi
		.amdhsa_group_segment_fixed_size 0
		.amdhsa_private_segment_fixed_size 8208
		.amdhsa_kernarg_size 352
		.amdhsa_user_sgpr_count 2
		.amdhsa_user_sgpr_dispatch_ptr 0
		.amdhsa_user_sgpr_queue_ptr 0
		.amdhsa_user_sgpr_kernarg_segment_ptr 1
		.amdhsa_user_sgpr_dispatch_id 0
		.amdhsa_user_sgpr_kernarg_preload_length 0
		.amdhsa_user_sgpr_kernarg_preload_offset 0
		.amdhsa_user_sgpr_private_segment_size 0
		.amdhsa_wavefront_size32 1
		.amdhsa_uses_dynamic_stack 0
		.amdhsa_enable_private_segment 1
		.amdhsa_system_sgpr_workgroup_id_x 1
		.amdhsa_system_sgpr_workgroup_id_y 0
		.amdhsa_system_sgpr_workgroup_id_z 0
		.amdhsa_system_sgpr_workgroup_info 0
		.amdhsa_system_vgpr_workitem_id 0
		.amdhsa_next_free_vgpr 115
		.amdhsa_next_free_sgpr 41
		.amdhsa_named_barrier_count 0
		.amdhsa_reserve_vcc 1
		.amdhsa_float_round_mode_32 0
		.amdhsa_float_round_mode_16_64 0
		.amdhsa_float_denorm_mode_32 3
		.amdhsa_float_denorm_mode_16_64 3
		.amdhsa_fp16_overflow 0
		.amdhsa_memory_ordered 1
		.amdhsa_forward_progress 1
		.amdhsa_inst_pref_size 95
		.amdhsa_round_robin_scheduling 0
		.amdhsa_exception_fp_ieee_invalid_op 0
		.amdhsa_exception_fp_denorm_src 0
		.amdhsa_exception_fp_ieee_div_zero 0
		.amdhsa_exception_fp_ieee_overflow 0
		.amdhsa_exception_fp_ieee_underflow 0
		.amdhsa_exception_fp_ieee_inexact 0
		.amdhsa_exception_int_div_zero 0
	.end_amdhsa_kernel
	.section	.text._ZL11fasten_mainILm128EEviiPK4AtomS2_PKfS4_S4_S4_S4_S4_PfPK8FFParamsi,"axG",@progbits,_ZL11fasten_mainILm128EEviiPK4AtomS2_PKfS4_S4_S4_S4_S4_PfPK8FFParamsi,comdat
.Lfunc_end7:
	.size	_ZL11fasten_mainILm128EEviiPK4AtomS2_PKfS4_S4_S4_S4_S4_PfPK8FFParamsi, .Lfunc_end7-_ZL11fasten_mainILm128EEviiPK4AtomS2_PKfS4_S4_S4_S4_S4_PfPK8FFParamsi
                                        ; -- End function
	.set _ZL11fasten_mainILm128EEviiPK4AtomS2_PKfS4_S4_S4_S4_S4_PfPK8FFParamsi.num_vgpr, 115
	.set _ZL11fasten_mainILm128EEviiPK4AtomS2_PKfS4_S4_S4_S4_S4_PfPK8FFParamsi.num_agpr, 0
	.set _ZL11fasten_mainILm128EEviiPK4AtomS2_PKfS4_S4_S4_S4_S4_PfPK8FFParamsi.numbered_sgpr, 41
	.set _ZL11fasten_mainILm128EEviiPK4AtomS2_PKfS4_S4_S4_S4_S4_PfPK8FFParamsi.num_named_barrier, 0
	.set _ZL11fasten_mainILm128EEviiPK4AtomS2_PKfS4_S4_S4_S4_S4_PfPK8FFParamsi.private_seg_size, 8208
	.set _ZL11fasten_mainILm128EEviiPK4AtomS2_PKfS4_S4_S4_S4_S4_PfPK8FFParamsi.uses_vcc, 1
	.set _ZL11fasten_mainILm128EEviiPK4AtomS2_PKfS4_S4_S4_S4_S4_PfPK8FFParamsi.uses_flat_scratch, 1
	.set _ZL11fasten_mainILm128EEviiPK4AtomS2_PKfS4_S4_S4_S4_S4_PfPK8FFParamsi.has_dyn_sized_stack, 0
	.set _ZL11fasten_mainILm128EEviiPK4AtomS2_PKfS4_S4_S4_S4_S4_PfPK8FFParamsi.has_recursion, 0
	.set _ZL11fasten_mainILm128EEviiPK4AtomS2_PKfS4_S4_S4_S4_S4_PfPK8FFParamsi.has_indirect_call, 0
	.section	.AMDGPU.csdata,"",@progbits
; Kernel info:
; codeLenInByte = 12160
; TotalNumSgprs: 43
; NumVgprs: 115
; ScratchSize: 8208
; MemoryBound: 0
; FloatMode: 240
; IeeeMode: 1
; LDSByteSize: 0 bytes/workgroup (compile time only)
; SGPRBlocks: 0
; VGPRBlocks: 7
; NumSGPRsForWavesPerEU: 43
; NumVGPRsForWavesPerEU: 115
; NamedBarCnt: 0
; Occupancy: 8
; WaveLimiterHint : 1
; COMPUTE_PGM_RSRC2:SCRATCH_EN: 1
; COMPUTE_PGM_RSRC2:USER_SGPR: 2
; COMPUTE_PGM_RSRC2:TRAP_HANDLER: 0
; COMPUTE_PGM_RSRC2:TGID_X_EN: 1
; COMPUTE_PGM_RSRC2:TGID_Y_EN: 0
; COMPUTE_PGM_RSRC2:TGID_Z_EN: 0
; COMPUTE_PGM_RSRC2:TIDIG_COMP_CNT: 0
	.section	.AMDGPU.gpr_maximums,"",@progbits
	.set amdgpu.max_num_vgpr, 0
	.set amdgpu.max_num_agpr, 0
	.set amdgpu.max_num_sgpr, 0
	.section	.AMDGPU.csdata,"",@progbits
	.type	__hip_cuid_f739bc8f69ecd282,@object ; @__hip_cuid_f739bc8f69ecd282
	.section	.bss,"aw",@nobits
	.globl	__hip_cuid_f739bc8f69ecd282
__hip_cuid_f739bc8f69ecd282:
	.byte	0                               ; 0x0
	.size	__hip_cuid_f739bc8f69ecd282, 1

	.ident	"AMD clang version 22.0.0git (https://github.com/RadeonOpenCompute/llvm-project roc-7.2.4 26084 f58b06dce1f9c15707c5f808fd002e18c2accf7e)"
	.section	".note.GNU-stack","",@progbits
	.addrsig
	.addrsig_sym __hip_cuid_f739bc8f69ecd282
	.amdgpu_metadata
---
amdhsa.kernels:
  - .args:
      - .offset:         0
        .size:           4
        .value_kind:     by_value
      - .offset:         4
        .size:           4
        .value_kind:     by_value
      - .address_space:  global
        .offset:         8
        .size:           8
        .value_kind:     global_buffer
      - .address_space:  global
        .offset:         16
        .size:           8
        .value_kind:     global_buffer
      - .address_space:  global
        .offset:         24
        .size:           8
        .value_kind:     global_buffer
      - .address_space:  global
        .offset:         32
        .size:           8
        .value_kind:     global_buffer
      - .address_space:  global
        .offset:         40
        .size:           8
        .value_kind:     global_buffer
      - .address_space:  global
        .offset:         48
        .size:           8
        .value_kind:     global_buffer
      - .address_space:  global
        .offset:         56
        .size:           8
        .value_kind:     global_buffer
      - .address_space:  global
        .offset:         64
        .size:           8
        .value_kind:     global_buffer
      - .address_space:  global
        .offset:         72
        .size:           8
        .value_kind:     global_buffer
      - .address_space:  global
        .offset:         80
        .size:           8
        .value_kind:     global_buffer
      - .offset:         88
        .size:           4
        .value_kind:     by_value
      - .offset:         96
        .size:           4
        .value_kind:     hidden_block_count_x
      - .offset:         100
        .size:           4
        .value_kind:     hidden_block_count_y
      - .offset:         104
        .size:           4
        .value_kind:     hidden_block_count_z
      - .offset:         108
        .size:           2
        .value_kind:     hidden_group_size_x
      - .offset:         110
        .size:           2
        .value_kind:     hidden_group_size_y
      - .offset:         112
        .size:           2
        .value_kind:     hidden_group_size_z
      - .offset:         114
        .size:           2
        .value_kind:     hidden_remainder_x
      - .offset:         116
        .size:           2
        .value_kind:     hidden_remainder_y
      - .offset:         118
        .size:           2
        .value_kind:     hidden_remainder_z
      - .offset:         136
        .size:           8
        .value_kind:     hidden_global_offset_x
      - .offset:         144
        .size:           8
        .value_kind:     hidden_global_offset_y
      - .offset:         152
        .size:           8
        .value_kind:     hidden_global_offset_z
      - .offset:         160
        .size:           2
        .value_kind:     hidden_grid_dims
    .group_segment_fixed_size: 0
    .kernarg_segment_align: 8
    .kernarg_segment_size: 352
    .language:       OpenCL C
    .language_version:
      - 2
      - 0
    .max_flat_workgroup_size: 1024
    .name:           _ZL11fasten_mainILm1EEviiPK4AtomS2_PKfS4_S4_S4_S4_S4_PfPK8FFParamsi
    .private_segment_fixed_size: 0
    .sgpr_count:     33
    .sgpr_spill_count: 0
    .symbol:         _ZL11fasten_mainILm1EEviiPK4AtomS2_PKfS4_S4_S4_S4_S4_PfPK8FFParamsi.kd
    .uniform_work_group_size: 1
    .uses_dynamic_stack: false
    .vgpr_count:     49
    .vgpr_spill_count: 0
    .wavefront_size: 32
  - .args:
      - .offset:         0
        .size:           4
        .value_kind:     by_value
      - .offset:         4
        .size:           4
        .value_kind:     by_value
      - .address_space:  global
        .offset:         8
        .size:           8
        .value_kind:     global_buffer
      - .address_space:  global
        .offset:         16
        .size:           8
        .value_kind:     global_buffer
      - .address_space:  global
        .offset:         24
        .size:           8
        .value_kind:     global_buffer
      - .address_space:  global
        .offset:         32
        .size:           8
        .value_kind:     global_buffer
      - .address_space:  global
        .offset:         40
        .size:           8
        .value_kind:     global_buffer
      - .address_space:  global
        .offset:         48
        .size:           8
        .value_kind:     global_buffer
      - .address_space:  global
        .offset:         56
        .size:           8
        .value_kind:     global_buffer
      - .address_space:  global
        .offset:         64
        .size:           8
        .value_kind:     global_buffer
      - .address_space:  global
        .offset:         72
        .size:           8
        .value_kind:     global_buffer
      - .address_space:  global
        .offset:         80
        .size:           8
        .value_kind:     global_buffer
      - .offset:         88
        .size:           4
        .value_kind:     by_value
      - .offset:         96
        .size:           4
        .value_kind:     hidden_block_count_x
      - .offset:         100
        .size:           4
        .value_kind:     hidden_block_count_y
      - .offset:         104
        .size:           4
        .value_kind:     hidden_block_count_z
      - .offset:         108
        .size:           2
        .value_kind:     hidden_group_size_x
      - .offset:         110
        .size:           2
        .value_kind:     hidden_group_size_y
      - .offset:         112
        .size:           2
        .value_kind:     hidden_group_size_z
      - .offset:         114
        .size:           2
        .value_kind:     hidden_remainder_x
      - .offset:         116
        .size:           2
        .value_kind:     hidden_remainder_y
      - .offset:         118
        .size:           2
        .value_kind:     hidden_remainder_z
      - .offset:         136
        .size:           8
        .value_kind:     hidden_global_offset_x
      - .offset:         144
        .size:           8
        .value_kind:     hidden_global_offset_y
      - .offset:         152
        .size:           8
        .value_kind:     hidden_global_offset_z
      - .offset:         160
        .size:           2
        .value_kind:     hidden_grid_dims
    .group_segment_fixed_size: 98304
    .kernarg_segment_align: 8
    .kernarg_segment_size: 352
    .language:       OpenCL C
    .language_version:
      - 2
      - 0
    .max_flat_workgroup_size: 1024
    .name:           _ZL11fasten_mainILm2EEviiPK4AtomS2_PKfS4_S4_S4_S4_S4_PfPK8FFParamsi
    .private_segment_fixed_size: 0
    .sgpr_count:     37
    .sgpr_spill_count: 0
    .symbol:         _ZL11fasten_mainILm2EEviiPK4AtomS2_PKfS4_S4_S4_S4_S4_PfPK8FFParamsi.kd
    .uniform_work_group_size: 1
    .uses_dynamic_stack: false
    .vgpr_count:     52
    .vgpr_spill_count: 0
    .wavefront_size: 32
  - .args:
      - .offset:         0
        .size:           4
        .value_kind:     by_value
      - .offset:         4
        .size:           4
        .value_kind:     by_value
      - .address_space:  global
        .offset:         8
        .size:           8
        .value_kind:     global_buffer
      - .address_space:  global
        .offset:         16
        .size:           8
        .value_kind:     global_buffer
      - .address_space:  global
        .offset:         24
        .size:           8
        .value_kind:     global_buffer
      - .address_space:  global
        .offset:         32
        .size:           8
        .value_kind:     global_buffer
      - .address_space:  global
        .offset:         40
        .size:           8
        .value_kind:     global_buffer
      - .address_space:  global
        .offset:         48
        .size:           8
        .value_kind:     global_buffer
      - .address_space:  global
        .offset:         56
        .size:           8
        .value_kind:     global_buffer
      - .address_space:  global
        .offset:         64
        .size:           8
        .value_kind:     global_buffer
      - .address_space:  global
        .offset:         72
        .size:           8
        .value_kind:     global_buffer
      - .address_space:  global
        .offset:         80
        .size:           8
        .value_kind:     global_buffer
      - .offset:         88
        .size:           4
        .value_kind:     by_value
      - .offset:         96
        .size:           4
        .value_kind:     hidden_block_count_x
      - .offset:         100
        .size:           4
        .value_kind:     hidden_block_count_y
      - .offset:         104
        .size:           4
        .value_kind:     hidden_block_count_z
      - .offset:         108
        .size:           2
        .value_kind:     hidden_group_size_x
      - .offset:         110
        .size:           2
        .value_kind:     hidden_group_size_y
      - .offset:         112
        .size:           2
        .value_kind:     hidden_group_size_z
      - .offset:         114
        .size:           2
        .value_kind:     hidden_remainder_x
      - .offset:         116
        .size:           2
        .value_kind:     hidden_remainder_y
      - .offset:         118
        .size:           2
        .value_kind:     hidden_remainder_z
      - .offset:         136
        .size:           8
        .value_kind:     hidden_global_offset_x
      - .offset:         144
        .size:           8
        .value_kind:     hidden_global_offset_y
      - .offset:         152
        .size:           8
        .value_kind:     hidden_global_offset_z
      - .offset:         160
        .size:           2
        .value_kind:     hidden_grid_dims
    .group_segment_fixed_size: 0
    .kernarg_segment_align: 8
    .kernarg_segment_size: 352
    .language:       OpenCL C
    .language_version:
      - 2
      - 0
    .max_flat_workgroup_size: 1024
    .name:           _ZL11fasten_mainILm4EEviiPK4AtomS2_PKfS4_S4_S4_S4_S4_PfPK8FFParamsi
    .private_segment_fixed_size: 224
    .sgpr_count:     43
    .sgpr_spill_count: 0
    .symbol:         _ZL11fasten_mainILm4EEviiPK4AtomS2_PKfS4_S4_S4_S4_S4_PfPK8FFParamsi.kd
    .uniform_work_group_size: 1
    .uses_dynamic_stack: false
    .vgpr_count:     96
    .vgpr_spill_count: 0
    .wavefront_size: 32
  - .args:
      - .offset:         0
        .size:           4
        .value_kind:     by_value
      - .offset:         4
        .size:           4
        .value_kind:     by_value
      - .address_space:  global
        .offset:         8
        .size:           8
        .value_kind:     global_buffer
      - .address_space:  global
        .offset:         16
        .size:           8
        .value_kind:     global_buffer
      - .address_space:  global
        .offset:         24
        .size:           8
        .value_kind:     global_buffer
      - .address_space:  global
        .offset:         32
        .size:           8
        .value_kind:     global_buffer
      - .address_space:  global
        .offset:         40
        .size:           8
        .value_kind:     global_buffer
      - .address_space:  global
        .offset:         48
        .size:           8
        .value_kind:     global_buffer
      - .address_space:  global
        .offset:         56
        .size:           8
        .value_kind:     global_buffer
      - .address_space:  global
        .offset:         64
        .size:           8
        .value_kind:     global_buffer
      - .address_space:  global
        .offset:         72
        .size:           8
        .value_kind:     global_buffer
      - .address_space:  global
        .offset:         80
        .size:           8
        .value_kind:     global_buffer
      - .offset:         88
        .size:           4
        .value_kind:     by_value
      - .offset:         96
        .size:           4
        .value_kind:     hidden_block_count_x
      - .offset:         100
        .size:           4
        .value_kind:     hidden_block_count_y
      - .offset:         104
        .size:           4
        .value_kind:     hidden_block_count_z
      - .offset:         108
        .size:           2
        .value_kind:     hidden_group_size_x
      - .offset:         110
        .size:           2
        .value_kind:     hidden_group_size_y
      - .offset:         112
        .size:           2
        .value_kind:     hidden_group_size_z
      - .offset:         114
        .size:           2
        .value_kind:     hidden_remainder_x
      - .offset:         116
        .size:           2
        .value_kind:     hidden_remainder_y
      - .offset:         118
        .size:           2
        .value_kind:     hidden_remainder_z
      - .offset:         136
        .size:           8
        .value_kind:     hidden_global_offset_x
      - .offset:         144
        .size:           8
        .value_kind:     hidden_global_offset_y
      - .offset:         152
        .size:           8
        .value_kind:     hidden_global_offset_z
      - .offset:         160
        .size:           2
        .value_kind:     hidden_grid_dims
    .group_segment_fixed_size: 0
    .kernarg_segment_align: 8
    .kernarg_segment_size: 352
    .language:       OpenCL C
    .language_version:
      - 2
      - 0
    .max_flat_workgroup_size: 1024
    .name:           _ZL11fasten_mainILm8EEviiPK4AtomS2_PKfS4_S4_S4_S4_S4_PfPK8FFParamsi
    .private_segment_fixed_size: 496
    .sgpr_count:     37
    .sgpr_spill_count: 0
    .symbol:         _ZL11fasten_mainILm8EEviiPK4AtomS2_PKfS4_S4_S4_S4_S4_PfPK8FFParamsi.kd
    .uniform_work_group_size: 1
    .uses_dynamic_stack: false
    .vgpr_count:     128
    .vgpr_spill_count: 18
    .wavefront_size: 32
  - .args:
      - .offset:         0
        .size:           4
        .value_kind:     by_value
      - .offset:         4
        .size:           4
        .value_kind:     by_value
      - .address_space:  global
        .offset:         8
        .size:           8
        .value_kind:     global_buffer
      - .address_space:  global
        .offset:         16
        .size:           8
        .value_kind:     global_buffer
      - .address_space:  global
        .offset:         24
        .size:           8
        .value_kind:     global_buffer
      - .address_space:  global
        .offset:         32
        .size:           8
        .value_kind:     global_buffer
      - .address_space:  global
        .offset:         40
        .size:           8
        .value_kind:     global_buffer
      - .address_space:  global
        .offset:         48
        .size:           8
        .value_kind:     global_buffer
      - .address_space:  global
        .offset:         56
        .size:           8
        .value_kind:     global_buffer
      - .address_space:  global
        .offset:         64
        .size:           8
        .value_kind:     global_buffer
      - .address_space:  global
        .offset:         72
        .size:           8
        .value_kind:     global_buffer
      - .address_space:  global
        .offset:         80
        .size:           8
        .value_kind:     global_buffer
      - .offset:         88
        .size:           4
        .value_kind:     by_value
      - .offset:         96
        .size:           4
        .value_kind:     hidden_block_count_x
      - .offset:         100
        .size:           4
        .value_kind:     hidden_block_count_y
      - .offset:         104
        .size:           4
        .value_kind:     hidden_block_count_z
      - .offset:         108
        .size:           2
        .value_kind:     hidden_group_size_x
      - .offset:         110
        .size:           2
        .value_kind:     hidden_group_size_y
      - .offset:         112
        .size:           2
        .value_kind:     hidden_group_size_z
      - .offset:         114
        .size:           2
        .value_kind:     hidden_remainder_x
      - .offset:         116
        .size:           2
        .value_kind:     hidden_remainder_y
      - .offset:         118
        .size:           2
        .value_kind:     hidden_remainder_z
      - .offset:         136
        .size:           8
        .value_kind:     hidden_global_offset_x
      - .offset:         144
        .size:           8
        .value_kind:     hidden_global_offset_y
      - .offset:         152
        .size:           8
        .value_kind:     hidden_global_offset_z
      - .offset:         160
        .size:           2
        .value_kind:     hidden_grid_dims
    .group_segment_fixed_size: 0
    .kernarg_segment_align: 8
    .kernarg_segment_size: 352
    .language:       OpenCL C
    .language_version:
      - 2
      - 0
    .max_flat_workgroup_size: 1024
    .name:           _ZL11fasten_mainILm16EEviiPK4AtomS2_PKfS4_S4_S4_S4_S4_PfPK8FFParamsi
    .private_segment_fixed_size: 1728
    .sgpr_count:     37
    .sgpr_spill_count: 0
    .symbol:         _ZL11fasten_mainILm16EEviiPK4AtomS2_PKfS4_S4_S4_S4_S4_PfPK8FFParamsi.kd
    .uniform_work_group_size: 1
    .uses_dynamic_stack: false
    .vgpr_count:     128
    .vgpr_spill_count: 221
    .wavefront_size: 32
  - .args:
      - .offset:         0
        .size:           4
        .value_kind:     by_value
      - .offset:         4
        .size:           4
        .value_kind:     by_value
      - .address_space:  global
        .offset:         8
        .size:           8
        .value_kind:     global_buffer
      - .address_space:  global
        .offset:         16
        .size:           8
        .value_kind:     global_buffer
      - .address_space:  global
        .offset:         24
        .size:           8
        .value_kind:     global_buffer
      - .address_space:  global
        .offset:         32
        .size:           8
        .value_kind:     global_buffer
      - .address_space:  global
        .offset:         40
        .size:           8
        .value_kind:     global_buffer
      - .address_space:  global
        .offset:         48
        .size:           8
        .value_kind:     global_buffer
      - .address_space:  global
        .offset:         56
        .size:           8
        .value_kind:     global_buffer
      - .address_space:  global
        .offset:         64
        .size:           8
        .value_kind:     global_buffer
      - .address_space:  global
        .offset:         72
        .size:           8
        .value_kind:     global_buffer
      - .address_space:  global
        .offset:         80
        .size:           8
        .value_kind:     global_buffer
      - .offset:         88
        .size:           4
        .value_kind:     by_value
      - .offset:         96
        .size:           4
        .value_kind:     hidden_block_count_x
      - .offset:         100
        .size:           4
        .value_kind:     hidden_block_count_y
      - .offset:         104
        .size:           4
        .value_kind:     hidden_block_count_z
      - .offset:         108
        .size:           2
        .value_kind:     hidden_group_size_x
      - .offset:         110
        .size:           2
        .value_kind:     hidden_group_size_y
      - .offset:         112
        .size:           2
        .value_kind:     hidden_group_size_z
      - .offset:         114
        .size:           2
        .value_kind:     hidden_remainder_x
      - .offset:         116
        .size:           2
        .value_kind:     hidden_remainder_y
      - .offset:         118
        .size:           2
        .value_kind:     hidden_remainder_z
      - .offset:         136
        .size:           8
        .value_kind:     hidden_global_offset_x
      - .offset:         144
        .size:           8
        .value_kind:     hidden_global_offset_y
      - .offset:         152
        .size:           8
        .value_kind:     hidden_global_offset_z
      - .offset:         160
        .size:           2
        .value_kind:     hidden_grid_dims
    .group_segment_fixed_size: 0
    .kernarg_segment_align: 8
    .kernarg_segment_size: 352
    .language:       OpenCL C
    .language_version:
      - 2
      - 0
    .max_flat_workgroup_size: 1024
    .name:           _ZL11fasten_mainILm32EEviiPK4AtomS2_PKfS4_S4_S4_S4_S4_PfPK8FFParamsi
    .private_segment_fixed_size: 3888
    .sgpr_count:     37
    .sgpr_spill_count: 0
    .symbol:         _ZL11fasten_mainILm32EEviiPK4AtomS2_PKfS4_S4_S4_S4_S4_PfPK8FFParamsi.kd
    .uniform_work_group_size: 1
    .uses_dynamic_stack: false
    .vgpr_count:     128
    .vgpr_spill_count: 580
    .wavefront_size: 32
  - .args:
      - .offset:         0
        .size:           4
        .value_kind:     by_value
      - .offset:         4
        .size:           4
        .value_kind:     by_value
      - .address_space:  global
        .offset:         8
        .size:           8
        .value_kind:     global_buffer
      - .address_space:  global
        .offset:         16
        .size:           8
        .value_kind:     global_buffer
      - .address_space:  global
        .offset:         24
        .size:           8
        .value_kind:     global_buffer
      - .address_space:  global
        .offset:         32
        .size:           8
        .value_kind:     global_buffer
      - .address_space:  global
        .offset:         40
        .size:           8
        .value_kind:     global_buffer
      - .address_space:  global
        .offset:         48
        .size:           8
        .value_kind:     global_buffer
      - .address_space:  global
        .offset:         56
        .size:           8
        .value_kind:     global_buffer
      - .address_space:  global
        .offset:         64
        .size:           8
        .value_kind:     global_buffer
      - .address_space:  global
        .offset:         72
        .size:           8
        .value_kind:     global_buffer
      - .address_space:  global
        .offset:         80
        .size:           8
        .value_kind:     global_buffer
      - .offset:         88
        .size:           4
        .value_kind:     by_value
      - .offset:         96
        .size:           4
        .value_kind:     hidden_block_count_x
      - .offset:         100
        .size:           4
        .value_kind:     hidden_block_count_y
      - .offset:         104
        .size:           4
        .value_kind:     hidden_block_count_z
      - .offset:         108
        .size:           2
        .value_kind:     hidden_group_size_x
      - .offset:         110
        .size:           2
        .value_kind:     hidden_group_size_y
      - .offset:         112
        .size:           2
        .value_kind:     hidden_group_size_z
      - .offset:         114
        .size:           2
        .value_kind:     hidden_remainder_x
      - .offset:         116
        .size:           2
        .value_kind:     hidden_remainder_y
      - .offset:         118
        .size:           2
        .value_kind:     hidden_remainder_z
      - .offset:         136
        .size:           8
        .value_kind:     hidden_global_offset_x
      - .offset:         144
        .size:           8
        .value_kind:     hidden_global_offset_y
      - .offset:         152
        .size:           8
        .value_kind:     hidden_global_offset_z
      - .offset:         160
        .size:           2
        .value_kind:     hidden_grid_dims
    .group_segment_fixed_size: 0
    .kernarg_segment_align: 8
    .kernarg_segment_size: 352
    .language:       OpenCL C
    .language_version:
      - 2
      - 0
    .max_flat_workgroup_size: 1024
    .name:           _ZL11fasten_mainILm64EEviiPK4AtomS2_PKfS4_S4_S4_S4_S4_PfPK8FFParamsi
    .private_segment_fixed_size: 6048
    .sgpr_count:     37
    .sgpr_spill_count: 0
    .symbol:         _ZL11fasten_mainILm64EEviiPK4AtomS2_PKfS4_S4_S4_S4_S4_PfPK8FFParamsi.kd
    .uniform_work_group_size: 1
    .uses_dynamic_stack: false
    .vgpr_count:     128
    .vgpr_spill_count: 677
    .wavefront_size: 32
  - .args:
      - .offset:         0
        .size:           4
        .value_kind:     by_value
      - .offset:         4
        .size:           4
        .value_kind:     by_value
      - .address_space:  global
        .offset:         8
        .size:           8
        .value_kind:     global_buffer
      - .address_space:  global
        .offset:         16
        .size:           8
        .value_kind:     global_buffer
      - .address_space:  global
        .offset:         24
        .size:           8
        .value_kind:     global_buffer
      - .address_space:  global
        .offset:         32
        .size:           8
        .value_kind:     global_buffer
      - .address_space:  global
        .offset:         40
        .size:           8
        .value_kind:     global_buffer
      - .address_space:  global
        .offset:         48
        .size:           8
        .value_kind:     global_buffer
      - .address_space:  global
        .offset:         56
        .size:           8
        .value_kind:     global_buffer
      - .address_space:  global
        .offset:         64
        .size:           8
        .value_kind:     global_buffer
      - .address_space:  global
        .offset:         72
        .size:           8
        .value_kind:     global_buffer
      - .address_space:  global
        .offset:         80
        .size:           8
        .value_kind:     global_buffer
      - .offset:         88
        .size:           4
        .value_kind:     by_value
      - .offset:         96
        .size:           4
        .value_kind:     hidden_block_count_x
      - .offset:         100
        .size:           4
        .value_kind:     hidden_block_count_y
      - .offset:         104
        .size:           4
        .value_kind:     hidden_block_count_z
      - .offset:         108
        .size:           2
        .value_kind:     hidden_group_size_x
      - .offset:         110
        .size:           2
        .value_kind:     hidden_group_size_y
      - .offset:         112
        .size:           2
        .value_kind:     hidden_group_size_z
      - .offset:         114
        .size:           2
        .value_kind:     hidden_remainder_x
      - .offset:         116
        .size:           2
        .value_kind:     hidden_remainder_y
      - .offset:         118
        .size:           2
        .value_kind:     hidden_remainder_z
      - .offset:         136
        .size:           8
        .value_kind:     hidden_global_offset_x
      - .offset:         144
        .size:           8
        .value_kind:     hidden_global_offset_y
      - .offset:         152
        .size:           8
        .value_kind:     hidden_global_offset_z
      - .offset:         160
        .size:           2
        .value_kind:     hidden_grid_dims
    .group_segment_fixed_size: 0
    .kernarg_segment_align: 8
    .kernarg_segment_size: 352
    .language:       OpenCL C
    .language_version:
      - 2
      - 0
    .max_flat_workgroup_size: 1024
    .name:           _ZL11fasten_mainILm128EEviiPK4AtomS2_PKfS4_S4_S4_S4_S4_PfPK8FFParamsi
    .private_segment_fixed_size: 8208
    .sgpr_count:     43
    .sgpr_spill_count: 0
    .symbol:         _ZL11fasten_mainILm128EEviiPK4AtomS2_PKfS4_S4_S4_S4_S4_PfPK8FFParamsi.kd
    .uniform_work_group_size: 1
    .uses_dynamic_stack: false
    .vgpr_count:     115
    .vgpr_spill_count: 0
    .wavefront_size: 32
amdhsa.target:   amdgcn-amd-amdhsa--gfx1250
amdhsa.version:
  - 1
  - 2
...

	.end_amdgpu_metadata
